;; amdgpu-corpus repo=ggml-org/llama.cpp kind=compiled arch=gfx1100 opt=O3
	.text
	.amdgcn_target "amdgcn-amd-amdhsa--gfx1100"
	.amdhsa_code_object_version 6
	.p2align	2                               ; -- Begin function __ockl_printf_append_string_n
	.type	__ockl_printf_append_string_n,@function
__ockl_printf_append_string_n:          ; @__ockl_printf_append_string_n
; %bb.0:
	s_waitcnt vmcnt(0) expcnt(0) lgkmcnt(0)
	v_dual_mov_b32 v7, v3 :: v_dual_mov_b32 v6, v2
	v_mov_b32_e32 v3, v0
	v_mbcnt_lo_u32_b32 v32, -1, 0
	s_mov_b32 s0, exec_lo
	s_delay_alu instid0(VALU_DEP_3)
	v_cmpx_ne_u64_e32 0, v[6:7]
	s_xor_b32 s10, exec_lo, s0
	s_cbranch_execz .LBB0_86
; %bb.1:
	s_load_b64 s[2:3], s[8:9], 0x50
	v_dual_mov_b32 v10, 2 :: v_dual_and_b32 v33, 2, v3
	v_dual_mov_b32 v9, 0 :: v_dual_and_b32 v0, -3, v3
	v_mov_b32_e32 v11, 1
	s_mov_b32 s12, 0
	s_mov_b32 s11, 0
	s_branch .LBB0_3
.LBB0_2:                                ;   in Loop: Header=BB0_3 Depth=1
	s_or_b32 exec_lo, exec_lo, s1
	v_sub_co_u32 v4, vcc_lo, v4, v28
	v_sub_co_ci_u32_e32 v5, vcc_lo, v5, v29, vcc_lo
	v_add_co_u32 v6, s0, v6, v28
	s_delay_alu instid0(VALU_DEP_1) | instskip(NEXT) | instid1(VALU_DEP_3)
	v_add_co_ci_u32_e64 v7, s0, v7, v29, s0
	v_cmp_eq_u64_e32 vcc_lo, 0, v[4:5]
	s_or_b32 s11, vcc_lo, s11
	s_delay_alu instid0(SALU_CYCLE_1)
	s_and_not1_b32 exec_lo, exec_lo, s11
	s_cbranch_execz .LBB0_85
.LBB0_3:                                ; =>This Loop Header: Depth=1
                                        ;     Child Loop BB0_6 Depth 2
                                        ;     Child Loop BB0_14 Depth 2
	;; [unrolled: 1-line block ×11, first 2 shown]
	v_cmp_gt_u64_e32 vcc_lo, 56, v[4:5]
	s_mov_b32 s1, exec_lo
                                        ; implicit-def: $vgpr2_vgpr3
                                        ; implicit-def: $sgpr4
	v_dual_cndmask_b32 v29, 0, v5 :: v_dual_cndmask_b32 v28, 56, v4
	v_cmpx_gt_u64_e32 8, v[4:5]
	s_xor_b32 s1, exec_lo, s1
	s_cbranch_execz .LBB0_9
; %bb.4:                                ;   in Loop: Header=BB0_3 Depth=1
	s_waitcnt vmcnt(0)
	v_mov_b32_e32 v2, 0
	v_mov_b32_e32 v3, 0
	s_mov_b64 s[4:5], 0
	s_mov_b32 s6, exec_lo
	v_cmpx_ne_u64_e32 0, v[4:5]
	s_cbranch_execz .LBB0_8
; %bb.5:                                ;   in Loop: Header=BB0_3 Depth=1
	v_lshlrev_b64 v[12:13], 3, v[28:29]
	v_mov_b32_e32 v2, 0
	v_dual_mov_b32 v3, 0 :: v_dual_mov_b32 v14, v7
	v_mov_b32_e32 v13, v6
	s_mov_b32 s7, 0
	.p2align	6
.LBB0_6:                                ;   Parent Loop BB0_3 Depth=1
                                        ; =>  This Inner Loop Header: Depth=2
	flat_load_u8 v8, v[13:14]
	v_mov_b32_e32 v16, s12
	v_add_co_u32 v13, vcc_lo, v13, 1
	v_add_co_ci_u32_e32 v14, vcc_lo, 0, v14, vcc_lo
	s_waitcnt vmcnt(0) lgkmcnt(0)
	v_and_b32_e32 v15, 0xffff, v8
	s_delay_alu instid0(VALU_DEP_1) | instskip(SKIP_3) | instid1(VALU_DEP_2)
	v_lshlrev_b64 v[15:16], s4, v[15:16]
	s_add_u32 s4, s4, 8
	s_addc_u32 s5, s5, 0
	v_cmp_eq_u32_e64 s0, s4, v12
	v_or_b32_e32 v3, v16, v3
	s_delay_alu instid0(VALU_DEP_3) | instskip(NEXT) | instid1(VALU_DEP_3)
	v_or_b32_e32 v2, v15, v2
	s_or_b32 s7, s0, s7
	s_delay_alu instid0(SALU_CYCLE_1)
	s_and_not1_b32 exec_lo, exec_lo, s7
	s_cbranch_execnz .LBB0_6
; %bb.7:                                ;   in Loop: Header=BB0_3 Depth=1
	s_or_b32 exec_lo, exec_lo, s7
.LBB0_8:                                ;   in Loop: Header=BB0_3 Depth=1
	s_delay_alu instid0(SALU_CYCLE_1)
	s_or_b32 exec_lo, exec_lo, s6
	s_mov_b32 s4, 0
.LBB0_9:                                ;   in Loop: Header=BB0_3 Depth=1
	s_or_saveexec_b32 s0, s1
	v_dual_mov_b32 v8, s4 :: v_dual_mov_b32 v25, v7
	v_mov_b32_e32 v24, v6
	s_xor_b32 exec_lo, exec_lo, s0
	s_cbranch_execz .LBB0_11
; %bb.10:                               ;   in Loop: Header=BB0_3 Depth=1
	s_waitcnt vmcnt(0)
	flat_load_b64 v[2:3], v[6:7]
	v_add_co_u32 v24, vcc_lo, v6, 8
	v_add_co_ci_u32_e32 v25, vcc_lo, 0, v7, vcc_lo
	s_waitcnt vmcnt(0) lgkmcnt(0)
	v_and_b32_e32 v8, 0xff, v3
	v_and_b32_e32 v12, 0xff00, v3
	;; [unrolled: 1-line block ×4, first 2 shown]
	v_or3_b32 v2, v2, 0, 0
	s_delay_alu instid0(VALU_DEP_4) | instskip(SKIP_1) | instid1(VALU_DEP_2)
	v_or_b32_e32 v12, v8, v12
	v_add_nc_u32_e32 v8, -8, v28
	v_or3_b32 v3, v12, v13, v3
.LBB0_11:                               ;   in Loop: Header=BB0_3 Depth=1
	s_or_b32 exec_lo, exec_lo, s0
                                        ; implicit-def: $vgpr12_vgpr13
                                        ; implicit-def: $sgpr1
	s_delay_alu instid0(SALU_CYCLE_1) | instskip(NEXT) | instid1(VALU_DEP_2)
	s_mov_b32 s0, exec_lo
	v_cmpx_gt_u32_e32 8, v8
	s_xor_b32 s6, exec_lo, s0
	s_cbranch_execz .LBB0_17
; %bb.12:                               ;   in Loop: Header=BB0_3 Depth=1
	v_mov_b32_e32 v12, 0
	v_mov_b32_e32 v13, 0
	s_mov_b32 s7, exec_lo
	v_cmpx_ne_u32_e32 0, v8
	s_cbranch_execz .LBB0_16
; %bb.13:                               ;   in Loop: Header=BB0_3 Depth=1
	v_mov_b32_e32 v12, 0
	v_mov_b32_e32 v13, 0
	s_mov_b64 s[0:1], 0
	s_mov_b32 s13, 0
	s_mov_b64 s[4:5], 0
	.p2align	6
.LBB0_14:                               ;   Parent Loop BB0_3 Depth=1
                                        ; =>  This Inner Loop Header: Depth=2
	s_delay_alu instid0(SALU_CYCLE_1)
	v_add_co_u32 v14, vcc_lo, v24, s4
	v_add_co_ci_u32_e32 v15, vcc_lo, s5, v25, vcc_lo
	s_add_u32 s4, s4, 1
	s_addc_u32 s5, s5, 0
	v_cmp_eq_u32_e32 vcc_lo, s4, v8
	flat_load_u8 v14, v[14:15]
	s_waitcnt vmcnt(0) lgkmcnt(0)
	v_dual_mov_b32 v15, s12 :: v_dual_and_b32 v14, 0xffff, v14
	s_delay_alu instid0(VALU_DEP_1) | instskip(SKIP_3) | instid1(VALU_DEP_1)
	v_lshlrev_b64 v[14:15], s0, v[14:15]
	s_add_u32 s0, s0, 8
	s_addc_u32 s1, s1, 0
	s_or_b32 s13, vcc_lo, s13
	v_or_b32_e32 v13, v15, v13
	s_delay_alu instid0(VALU_DEP_2)
	v_or_b32_e32 v12, v14, v12
	s_and_not1_b32 exec_lo, exec_lo, s13
	s_cbranch_execnz .LBB0_14
; %bb.15:                               ;   in Loop: Header=BB0_3 Depth=1
	s_or_b32 exec_lo, exec_lo, s13
.LBB0_16:                               ;   in Loop: Header=BB0_3 Depth=1
	s_delay_alu instid0(SALU_CYCLE_1)
	s_or_b32 exec_lo, exec_lo, s7
	s_mov_b32 s1, 0
                                        ; implicit-def: $vgpr8
.LBB0_17:                               ;   in Loop: Header=BB0_3 Depth=1
	s_or_saveexec_b32 s0, s6
	v_mov_b32_e32 v16, s1
	s_xor_b32 exec_lo, exec_lo, s0
	s_cbranch_execz .LBB0_19
; %bb.18:                               ;   in Loop: Header=BB0_3 Depth=1
	flat_load_b64 v[12:13], v[24:25]
	v_add_co_u32 v24, vcc_lo, v24, 8
	v_add_nc_u32_e32 v16, -8, v8
	v_add_co_ci_u32_e32 v25, vcc_lo, 0, v25, vcc_lo
	s_waitcnt vmcnt(0) lgkmcnt(0)
	v_and_b32_e32 v14, 0xff, v13
	v_and_b32_e32 v15, 0xff00, v13
	;; [unrolled: 1-line block ×4, first 2 shown]
	v_or3_b32 v12, v12, 0, 0
	s_delay_alu instid0(VALU_DEP_4) | instskip(NEXT) | instid1(VALU_DEP_1)
	v_or_b32_e32 v14, v14, v15
	v_or3_b32 v13, v14, v17, v13
.LBB0_19:                               ;   in Loop: Header=BB0_3 Depth=1
	s_or_b32 exec_lo, exec_lo, s0
                                        ; implicit-def: $sgpr1
	s_delay_alu instid0(SALU_CYCLE_1)
	s_mov_b32 s0, exec_lo
	v_cmpx_gt_u32_e32 8, v16
	s_xor_b32 s6, exec_lo, s0
	s_cbranch_execz .LBB0_25
; %bb.20:                               ;   in Loop: Header=BB0_3 Depth=1
	v_mov_b32_e32 v14, 0
	v_mov_b32_e32 v15, 0
	s_mov_b32 s7, exec_lo
	v_cmpx_ne_u32_e32 0, v16
	s_cbranch_execz .LBB0_24
; %bb.21:                               ;   in Loop: Header=BB0_3 Depth=1
	v_mov_b32_e32 v14, 0
	v_mov_b32_e32 v15, 0
	s_mov_b64 s[0:1], 0
	s_mov_b32 s13, 0
	s_mov_b64 s[4:5], 0
	.p2align	6
.LBB0_22:                               ;   Parent Loop BB0_3 Depth=1
                                        ; =>  This Inner Loop Header: Depth=2
	s_delay_alu instid0(SALU_CYCLE_1)
	v_add_co_u32 v17, vcc_lo, v24, s4
	v_add_co_ci_u32_e32 v18, vcc_lo, s5, v25, vcc_lo
	s_add_u32 s4, s4, 1
	s_addc_u32 s5, s5, 0
	v_cmp_eq_u32_e32 vcc_lo, s4, v16
	flat_load_u8 v8, v[17:18]
	s_waitcnt vmcnt(0) lgkmcnt(0)
	v_dual_mov_b32 v18, s12 :: v_dual_and_b32 v17, 0xffff, v8
	s_delay_alu instid0(VALU_DEP_1) | instskip(SKIP_3) | instid1(VALU_DEP_1)
	v_lshlrev_b64 v[17:18], s0, v[17:18]
	s_add_u32 s0, s0, 8
	s_addc_u32 s1, s1, 0
	s_or_b32 s13, vcc_lo, s13
	v_or_b32_e32 v15, v18, v15
	s_delay_alu instid0(VALU_DEP_2)
	v_or_b32_e32 v14, v17, v14
	s_and_not1_b32 exec_lo, exec_lo, s13
	s_cbranch_execnz .LBB0_22
; %bb.23:                               ;   in Loop: Header=BB0_3 Depth=1
	s_or_b32 exec_lo, exec_lo, s13
.LBB0_24:                               ;   in Loop: Header=BB0_3 Depth=1
	s_delay_alu instid0(SALU_CYCLE_1)
	s_or_b32 exec_lo, exec_lo, s7
	s_mov_b32 s1, 0
                                        ; implicit-def: $vgpr16
.LBB0_25:                               ;   in Loop: Header=BB0_3 Depth=1
	s_or_saveexec_b32 s0, s6
	v_mov_b32_e32 v8, s1
	s_xor_b32 exec_lo, exec_lo, s0
	s_cbranch_execz .LBB0_27
; %bb.26:                               ;   in Loop: Header=BB0_3 Depth=1
	flat_load_b64 v[14:15], v[24:25]
	v_add_co_u32 v24, vcc_lo, v24, 8
	v_add_co_ci_u32_e32 v25, vcc_lo, 0, v25, vcc_lo
	s_waitcnt vmcnt(0) lgkmcnt(0)
	v_and_b32_e32 v8, 0xff, v15
	v_and_b32_e32 v17, 0xff00, v15
	;; [unrolled: 1-line block ×4, first 2 shown]
	v_or3_b32 v14, v14, 0, 0
	s_delay_alu instid0(VALU_DEP_4) | instskip(SKIP_1) | instid1(VALU_DEP_2)
	v_or_b32_e32 v17, v8, v17
	v_add_nc_u32_e32 v8, -8, v16
	v_or3_b32 v15, v17, v18, v15
.LBB0_27:                               ;   in Loop: Header=BB0_3 Depth=1
	s_or_b32 exec_lo, exec_lo, s0
                                        ; implicit-def: $vgpr16_vgpr17
                                        ; implicit-def: $sgpr1
	s_delay_alu instid0(SALU_CYCLE_1) | instskip(NEXT) | instid1(VALU_DEP_1)
	s_mov_b32 s0, exec_lo
	v_cmpx_gt_u32_e32 8, v8
	s_xor_b32 s6, exec_lo, s0
	s_cbranch_execz .LBB0_33
; %bb.28:                               ;   in Loop: Header=BB0_3 Depth=1
	v_mov_b32_e32 v16, 0
	v_mov_b32_e32 v17, 0
	s_mov_b32 s7, exec_lo
	v_cmpx_ne_u32_e32 0, v8
	s_cbranch_execz .LBB0_32
; %bb.29:                               ;   in Loop: Header=BB0_3 Depth=1
	v_mov_b32_e32 v16, 0
	v_mov_b32_e32 v17, 0
	s_mov_b64 s[0:1], 0
	s_mov_b32 s13, 0
	s_mov_b64 s[4:5], 0
	.p2align	6
.LBB0_30:                               ;   Parent Loop BB0_3 Depth=1
                                        ; =>  This Inner Loop Header: Depth=2
	s_delay_alu instid0(SALU_CYCLE_1)
	v_add_co_u32 v18, vcc_lo, v24, s4
	v_add_co_ci_u32_e32 v19, vcc_lo, s5, v25, vcc_lo
	s_add_u32 s4, s4, 1
	s_addc_u32 s5, s5, 0
	v_cmp_eq_u32_e32 vcc_lo, s4, v8
	flat_load_u8 v18, v[18:19]
	s_waitcnt vmcnt(0) lgkmcnt(0)
	v_dual_mov_b32 v19, s12 :: v_dual_and_b32 v18, 0xffff, v18
	s_delay_alu instid0(VALU_DEP_1) | instskip(SKIP_3) | instid1(VALU_DEP_1)
	v_lshlrev_b64 v[18:19], s0, v[18:19]
	s_add_u32 s0, s0, 8
	s_addc_u32 s1, s1, 0
	s_or_b32 s13, vcc_lo, s13
	v_or_b32_e32 v17, v19, v17
	s_delay_alu instid0(VALU_DEP_2)
	v_or_b32_e32 v16, v18, v16
	s_and_not1_b32 exec_lo, exec_lo, s13
	s_cbranch_execnz .LBB0_30
; %bb.31:                               ;   in Loop: Header=BB0_3 Depth=1
	s_or_b32 exec_lo, exec_lo, s13
.LBB0_32:                               ;   in Loop: Header=BB0_3 Depth=1
	s_delay_alu instid0(SALU_CYCLE_1)
	s_or_b32 exec_lo, exec_lo, s7
	s_mov_b32 s1, 0
                                        ; implicit-def: $vgpr8
.LBB0_33:                               ;   in Loop: Header=BB0_3 Depth=1
	s_or_saveexec_b32 s0, s6
	v_mov_b32_e32 v20, s1
	s_xor_b32 exec_lo, exec_lo, s0
	s_cbranch_execz .LBB0_35
; %bb.34:                               ;   in Loop: Header=BB0_3 Depth=1
	flat_load_b64 v[16:17], v[24:25]
	v_add_co_u32 v24, vcc_lo, v24, 8
	v_add_nc_u32_e32 v20, -8, v8
	v_add_co_ci_u32_e32 v25, vcc_lo, 0, v25, vcc_lo
	s_waitcnt vmcnt(0) lgkmcnt(0)
	v_and_b32_e32 v18, 0xff, v17
	v_and_b32_e32 v19, 0xff00, v17
	;; [unrolled: 1-line block ×4, first 2 shown]
	v_or3_b32 v16, v16, 0, 0
	s_delay_alu instid0(VALU_DEP_4) | instskip(NEXT) | instid1(VALU_DEP_1)
	v_or_b32_e32 v18, v18, v19
	v_or3_b32 v17, v18, v21, v17
.LBB0_35:                               ;   in Loop: Header=BB0_3 Depth=1
	s_or_b32 exec_lo, exec_lo, s0
                                        ; implicit-def: $sgpr1
	s_delay_alu instid0(SALU_CYCLE_1)
	s_mov_b32 s0, exec_lo
	v_cmpx_gt_u32_e32 8, v20
	s_xor_b32 s6, exec_lo, s0
	s_cbranch_execz .LBB0_41
; %bb.36:                               ;   in Loop: Header=BB0_3 Depth=1
	v_mov_b32_e32 v18, 0
	v_mov_b32_e32 v19, 0
	s_mov_b32 s7, exec_lo
	v_cmpx_ne_u32_e32 0, v20
	s_cbranch_execz .LBB0_40
; %bb.37:                               ;   in Loop: Header=BB0_3 Depth=1
	v_mov_b32_e32 v18, 0
	v_mov_b32_e32 v19, 0
	s_mov_b64 s[0:1], 0
	s_mov_b32 s13, 0
	s_mov_b64 s[4:5], 0
	.p2align	6
.LBB0_38:                               ;   Parent Loop BB0_3 Depth=1
                                        ; =>  This Inner Loop Header: Depth=2
	s_delay_alu instid0(SALU_CYCLE_1)
	v_add_co_u32 v21, vcc_lo, v24, s4
	v_add_co_ci_u32_e32 v22, vcc_lo, s5, v25, vcc_lo
	s_add_u32 s4, s4, 1
	s_addc_u32 s5, s5, 0
	v_cmp_eq_u32_e32 vcc_lo, s4, v20
	flat_load_u8 v8, v[21:22]
	s_waitcnt vmcnt(0) lgkmcnt(0)
	v_dual_mov_b32 v22, s12 :: v_dual_and_b32 v21, 0xffff, v8
	s_delay_alu instid0(VALU_DEP_1) | instskip(SKIP_3) | instid1(VALU_DEP_1)
	v_lshlrev_b64 v[21:22], s0, v[21:22]
	s_add_u32 s0, s0, 8
	s_addc_u32 s1, s1, 0
	s_or_b32 s13, vcc_lo, s13
	v_or_b32_e32 v19, v22, v19
	s_delay_alu instid0(VALU_DEP_2)
	v_or_b32_e32 v18, v21, v18
	s_and_not1_b32 exec_lo, exec_lo, s13
	s_cbranch_execnz .LBB0_38
; %bb.39:                               ;   in Loop: Header=BB0_3 Depth=1
	s_or_b32 exec_lo, exec_lo, s13
.LBB0_40:                               ;   in Loop: Header=BB0_3 Depth=1
	s_delay_alu instid0(SALU_CYCLE_1)
	s_or_b32 exec_lo, exec_lo, s7
	s_mov_b32 s1, 0
                                        ; implicit-def: $vgpr20
.LBB0_41:                               ;   in Loop: Header=BB0_3 Depth=1
	s_or_saveexec_b32 s0, s6
	v_mov_b32_e32 v8, s1
	s_xor_b32 exec_lo, exec_lo, s0
	s_cbranch_execz .LBB0_43
; %bb.42:                               ;   in Loop: Header=BB0_3 Depth=1
	flat_load_b64 v[18:19], v[24:25]
	v_add_co_u32 v24, vcc_lo, v24, 8
	v_add_co_ci_u32_e32 v25, vcc_lo, 0, v25, vcc_lo
	s_waitcnt vmcnt(0) lgkmcnt(0)
	v_and_b32_e32 v8, 0xff, v19
	v_and_b32_e32 v21, 0xff00, v19
	v_and_b32_e32 v22, 0xff0000, v19
	v_and_b32_e32 v19, 0xff000000, v19
	v_or3_b32 v18, v18, 0, 0
	s_delay_alu instid0(VALU_DEP_4) | instskip(SKIP_1) | instid1(VALU_DEP_2)
	v_or_b32_e32 v21, v8, v21
	v_add_nc_u32_e32 v8, -8, v20
	v_or3_b32 v19, v21, v22, v19
.LBB0_43:                               ;   in Loop: Header=BB0_3 Depth=1
	s_or_b32 exec_lo, exec_lo, s0
                                        ; implicit-def: $vgpr20_vgpr21
                                        ; implicit-def: $sgpr1
	s_delay_alu instid0(SALU_CYCLE_1) | instskip(NEXT) | instid1(VALU_DEP_1)
	s_mov_b32 s0, exec_lo
	v_cmpx_gt_u32_e32 8, v8
	s_xor_b32 s6, exec_lo, s0
	s_cbranch_execz .LBB0_49
; %bb.44:                               ;   in Loop: Header=BB0_3 Depth=1
	v_mov_b32_e32 v20, 0
	v_mov_b32_e32 v21, 0
	s_mov_b32 s7, exec_lo
	v_cmpx_ne_u32_e32 0, v8
	s_cbranch_execz .LBB0_48
; %bb.45:                               ;   in Loop: Header=BB0_3 Depth=1
	v_mov_b32_e32 v20, 0
	v_mov_b32_e32 v21, 0
	s_mov_b64 s[0:1], 0
	s_mov_b32 s13, 0
	s_mov_b64 s[4:5], 0
	.p2align	6
.LBB0_46:                               ;   Parent Loop BB0_3 Depth=1
                                        ; =>  This Inner Loop Header: Depth=2
	s_delay_alu instid0(SALU_CYCLE_1)
	v_add_co_u32 v22, vcc_lo, v24, s4
	v_add_co_ci_u32_e32 v23, vcc_lo, s5, v25, vcc_lo
	s_add_u32 s4, s4, 1
	s_addc_u32 s5, s5, 0
	v_cmp_eq_u32_e32 vcc_lo, s4, v8
	flat_load_u8 v22, v[22:23]
	s_waitcnt vmcnt(0) lgkmcnt(0)
	v_dual_mov_b32 v23, s12 :: v_dual_and_b32 v22, 0xffff, v22
	s_delay_alu instid0(VALU_DEP_1) | instskip(SKIP_3) | instid1(VALU_DEP_1)
	v_lshlrev_b64 v[22:23], s0, v[22:23]
	s_add_u32 s0, s0, 8
	s_addc_u32 s1, s1, 0
	s_or_b32 s13, vcc_lo, s13
	v_or_b32_e32 v21, v23, v21
	s_delay_alu instid0(VALU_DEP_2)
	v_or_b32_e32 v20, v22, v20
	s_and_not1_b32 exec_lo, exec_lo, s13
	s_cbranch_execnz .LBB0_46
; %bb.47:                               ;   in Loop: Header=BB0_3 Depth=1
	s_or_b32 exec_lo, exec_lo, s13
.LBB0_48:                               ;   in Loop: Header=BB0_3 Depth=1
	s_delay_alu instid0(SALU_CYCLE_1)
	s_or_b32 exec_lo, exec_lo, s7
	s_mov_b32 s1, 0
                                        ; implicit-def: $vgpr8
.LBB0_49:                               ;   in Loop: Header=BB0_3 Depth=1
	s_or_saveexec_b32 s0, s6
	v_mov_b32_e32 v26, s1
	s_xor_b32 exec_lo, exec_lo, s0
	s_cbranch_execz .LBB0_51
; %bb.50:                               ;   in Loop: Header=BB0_3 Depth=1
	flat_load_b64 v[20:21], v[24:25]
	v_add_co_u32 v24, vcc_lo, v24, 8
	v_add_nc_u32_e32 v26, -8, v8
	v_add_co_ci_u32_e32 v25, vcc_lo, 0, v25, vcc_lo
	s_waitcnt vmcnt(0) lgkmcnt(0)
	v_and_b32_e32 v22, 0xff, v21
	v_and_b32_e32 v23, 0xff00, v21
	v_and_b32_e32 v27, 0xff0000, v21
	v_and_b32_e32 v21, 0xff000000, v21
	v_or3_b32 v20, v20, 0, 0
	s_delay_alu instid0(VALU_DEP_4) | instskip(NEXT) | instid1(VALU_DEP_1)
	v_or_b32_e32 v22, v22, v23
	v_or3_b32 v21, v22, v27, v21
.LBB0_51:                               ;   in Loop: Header=BB0_3 Depth=1
	s_or_b32 exec_lo, exec_lo, s0
	s_delay_alu instid0(SALU_CYCLE_1)
	s_mov_b32 s0, exec_lo
	v_cmpx_gt_u32_e32 8, v26
	s_xor_b32 s4, exec_lo, s0
	s_cbranch_execz .LBB0_57
; %bb.52:                               ;   in Loop: Header=BB0_3 Depth=1
	v_mov_b32_e32 v22, 0
	v_mov_b32_e32 v23, 0
	s_mov_b32 s5, exec_lo
	v_cmpx_ne_u32_e32 0, v26
	s_cbranch_execz .LBB0_56
; %bb.53:                               ;   in Loop: Header=BB0_3 Depth=1
	v_mov_b32_e32 v22, 0
	v_mov_b32_e32 v23, 0
	s_mov_b64 s[0:1], 0
	s_mov_b32 s6, 0
	.p2align	6
.LBB0_54:                               ;   Parent Loop BB0_3 Depth=1
                                        ; =>  This Inner Loop Header: Depth=2
	flat_load_u8 v8, v[24:25]
	v_dual_mov_b32 v31, s12 :: v_dual_add_nc_u32 v26, -1, v26
	v_add_co_u32 v24, vcc_lo, v24, 1
	v_add_co_ci_u32_e32 v25, vcc_lo, 0, v25, vcc_lo
	s_delay_alu instid0(VALU_DEP_3) | instskip(SKIP_2) | instid1(VALU_DEP_1)
	v_cmp_eq_u32_e32 vcc_lo, 0, v26
	s_waitcnt vmcnt(0) lgkmcnt(0)
	v_and_b32_e32 v30, 0xffff, v8
	v_lshlrev_b64 v[30:31], s0, v[30:31]
	s_add_u32 s0, s0, 8
	s_addc_u32 s1, s1, 0
	s_or_b32 s6, vcc_lo, s6
	s_delay_alu instid0(VALU_DEP_1) | instskip(NEXT) | instid1(VALU_DEP_2)
	v_or_b32_e32 v23, v31, v23
	v_or_b32_e32 v22, v30, v22
	s_and_not1_b32 exec_lo, exec_lo, s6
	s_cbranch_execnz .LBB0_54
; %bb.55:                               ;   in Loop: Header=BB0_3 Depth=1
	s_or_b32 exec_lo, exec_lo, s6
.LBB0_56:                               ;   in Loop: Header=BB0_3 Depth=1
	s_delay_alu instid0(SALU_CYCLE_1)
	s_or_b32 exec_lo, exec_lo, s5
                                        ; implicit-def: $vgpr24_vgpr25
.LBB0_57:                               ;   in Loop: Header=BB0_3 Depth=1
	s_and_not1_saveexec_b32 s0, s4
	s_cbranch_execz .LBB0_59
; %bb.58:                               ;   in Loop: Header=BB0_3 Depth=1
	flat_load_b64 v[22:23], v[24:25]
	s_waitcnt vmcnt(0) lgkmcnt(0)
	v_and_b32_e32 v8, 0xff, v23
	v_and_b32_e32 v24, 0xff00, v23
	;; [unrolled: 1-line block ×4, first 2 shown]
	v_or3_b32 v22, v22, 0, 0
	s_delay_alu instid0(VALU_DEP_4) | instskip(NEXT) | instid1(VALU_DEP_1)
	v_or_b32_e32 v8, v8, v24
	v_or3_b32 v23, v8, v25, v23
.LBB0_59:                               ;   in Loop: Header=BB0_3 Depth=1
	s_or_b32 exec_lo, exec_lo, s0
	v_readfirstlane_b32 s0, v32
	v_mov_b32_e32 v30, 0
	v_mov_b32_e32 v31, 0
	s_delay_alu instid0(VALU_DEP_3) | instskip(NEXT) | instid1(VALU_DEP_1)
	v_cmp_eq_u32_e64 s0, s0, v32
	s_and_saveexec_b32 s1, s0
	s_cbranch_execz .LBB0_65
; %bb.60:                               ;   in Loop: Header=BB0_3 Depth=1
	s_waitcnt lgkmcnt(0)
	global_load_b64 v[26:27], v9, s[2:3] offset:24 glc
	s_waitcnt vmcnt(0)
	buffer_gl1_inv
	buffer_gl0_inv
	s_clause 0x1
	global_load_b64 v[24:25], v9, s[2:3] offset:40
	global_load_b64 v[30:31], v9, s[2:3]
	s_mov_b32 s4, exec_lo
	s_waitcnt vmcnt(1)
	v_and_b32_e32 v8, v25, v27
	v_and_b32_e32 v24, v24, v26
	s_delay_alu instid0(VALU_DEP_2) | instskip(NEXT) | instid1(VALU_DEP_2)
	v_mul_lo_u32 v8, v8, 24
	v_mul_hi_u32 v25, v24, 24
	v_mul_lo_u32 v24, v24, 24
	s_delay_alu instid0(VALU_DEP_2) | instskip(SKIP_1) | instid1(VALU_DEP_2)
	v_add_nc_u32_e32 v8, v25, v8
	s_waitcnt vmcnt(0)
	v_add_co_u32 v24, vcc_lo, v30, v24
	s_delay_alu instid0(VALU_DEP_2)
	v_add_co_ci_u32_e32 v25, vcc_lo, v31, v8, vcc_lo
	global_load_b64 v[24:25], v[24:25], off glc
	s_waitcnt vmcnt(0)
	global_atomic_cmpswap_b64 v[30:31], v9, v[24:27], s[2:3] offset:24 glc
	s_waitcnt vmcnt(0)
	buffer_gl1_inv
	buffer_gl0_inv
	v_cmpx_ne_u64_e64 v[30:31], v[26:27]
	s_cbranch_execz .LBB0_64
; %bb.61:                               ;   in Loop: Header=BB0_3 Depth=1
	s_mov_b32 s5, 0
	.p2align	6
.LBB0_62:                               ;   Parent Loop BB0_3 Depth=1
                                        ; =>  This Inner Loop Header: Depth=2
	s_sleep 1
	s_clause 0x1
	global_load_b64 v[24:25], v9, s[2:3] offset:40
	global_load_b64 v[34:35], v9, s[2:3]
	v_dual_mov_b32 v26, v30 :: v_dual_mov_b32 v27, v31
	s_waitcnt vmcnt(1)
	s_delay_alu instid0(VALU_DEP_1) | instskip(SKIP_1) | instid1(VALU_DEP_1)
	v_and_b32_e32 v8, v24, v26
	s_waitcnt vmcnt(0)
	v_mad_u64_u32 v[30:31], null, v8, 24, v[34:35]
	v_and_b32_e32 v34, v25, v27
	s_delay_alu instid0(VALU_DEP_2) | instskip(NEXT) | instid1(VALU_DEP_1)
	v_mov_b32_e32 v8, v31
	v_mad_u64_u32 v[24:25], null, v34, 24, v[8:9]
	s_delay_alu instid0(VALU_DEP_1)
	v_mov_b32_e32 v31, v24
	global_load_b64 v[24:25], v[30:31], off glc
	s_waitcnt vmcnt(0)
	global_atomic_cmpswap_b64 v[30:31], v9, v[24:27], s[2:3] offset:24 glc
	s_waitcnt vmcnt(0)
	buffer_gl1_inv
	buffer_gl0_inv
	v_cmp_eq_u64_e32 vcc_lo, v[30:31], v[26:27]
	s_or_b32 s5, vcc_lo, s5
	s_delay_alu instid0(SALU_CYCLE_1)
	s_and_not1_b32 exec_lo, exec_lo, s5
	s_cbranch_execnz .LBB0_62
; %bb.63:                               ;   in Loop: Header=BB0_3 Depth=1
	s_or_b32 exec_lo, exec_lo, s5
.LBB0_64:                               ;   in Loop: Header=BB0_3 Depth=1
	s_delay_alu instid0(SALU_CYCLE_1)
	s_or_b32 exec_lo, exec_lo, s4
.LBB0_65:                               ;   in Loop: Header=BB0_3 Depth=1
	s_delay_alu instid0(SALU_CYCLE_1)
	s_or_b32 exec_lo, exec_lo, s1
	s_waitcnt lgkmcnt(0)
	s_clause 0x1
	global_load_b64 v[34:35], v9, s[2:3] offset:40
	global_load_b128 v[24:27], v9, s[2:3]
	v_readfirstlane_b32 s4, v30
	v_readfirstlane_b32 s5, v31
	s_mov_b32 s1, exec_lo
	s_waitcnt vmcnt(1)
	v_readfirstlane_b32 s6, v34
	v_readfirstlane_b32 s7, v35
	s_delay_alu instid0(VALU_DEP_1) | instskip(NEXT) | instid1(SALU_CYCLE_1)
	s_and_b64 s[6:7], s[4:5], s[6:7]
	s_mul_i32 s13, s7, 24
	s_mul_hi_u32 s14, s6, 24
	s_mul_i32 s15, s6, 24
	s_add_i32 s14, s14, s13
	s_waitcnt vmcnt(0)
	v_add_co_u32 v30, vcc_lo, v24, s15
	v_add_co_ci_u32_e32 v31, vcc_lo, s14, v25, vcc_lo
	s_and_saveexec_b32 s13, s0
	s_cbranch_execz .LBB0_67
; %bb.66:                               ;   in Loop: Header=BB0_3 Depth=1
	v_mov_b32_e32 v8, s1
	global_store_b128 v[30:31], v[8:11], off offset:8
.LBB0_67:                               ;   in Loop: Header=BB0_3 Depth=1
	s_or_b32 exec_lo, exec_lo, s13
	v_cmp_lt_u64_e32 vcc_lo, 56, v[4:5]
	v_or_b32_e32 v8, 0, v1
	v_or_b32_e32 v34, v0, v33
	v_lshl_add_u32 v35, v28, 2, 28
	s_lshl_b64 s[6:7], s[6:7], 12
	s_delay_alu instid0(SALU_CYCLE_1) | instskip(NEXT) | instid1(VALU_DEP_1)
	v_add_co_u32 v26, s1, v26, s6
	v_add_co_ci_u32_e64 v27, s1, s7, v27, s1
	v_dual_cndmask_b32 v1, v8, v1 :: v_dual_cndmask_b32 v0, v34, v0
	v_and_b32_e32 v8, 0x1e0, v35
	v_lshlrev_b32_e32 v34, 6, v32
	v_readfirstlane_b32 s6, v26
	v_readfirstlane_b32 s7, v27
	s_delay_alu instid0(VALU_DEP_4)
	v_and_or_b32 v0, 0xffffff1f, v0, v8
	s_clause 0x3
	global_store_b128 v34, v[0:3], s[6:7]
	global_store_b128 v34, v[12:15], s[6:7] offset:16
	global_store_b128 v34, v[16:19], s[6:7] offset:32
	;; [unrolled: 1-line block ×3, first 2 shown]
	s_and_saveexec_b32 s1, s0
	s_cbranch_execz .LBB0_75
; %bb.68:                               ;   in Loop: Header=BB0_3 Depth=1
	s_clause 0x1
	global_load_b64 v[16:17], v9, s[2:3] offset:32 glc
	global_load_b64 v[0:1], v9, s[2:3] offset:40
	v_dual_mov_b32 v14, s4 :: v_dual_mov_b32 v15, s5
	s_waitcnt vmcnt(0)
	v_readfirstlane_b32 s6, v0
	v_readfirstlane_b32 s7, v1
	s_delay_alu instid0(VALU_DEP_1) | instskip(NEXT) | instid1(SALU_CYCLE_1)
	s_and_b64 s[6:7], s[6:7], s[4:5]
	s_mul_i32 s7, s7, 24
	s_mul_hi_u32 s13, s6, 24
	s_mul_i32 s6, s6, 24
	s_add_i32 s13, s13, s7
	v_add_co_u32 v12, vcc_lo, v24, s6
	v_add_co_ci_u32_e32 v13, vcc_lo, s13, v25, vcc_lo
	s_mov_b32 s6, exec_lo
	global_store_b64 v[12:13], v[16:17], off
	s_waitcnt_vscnt null, 0x0
	global_atomic_cmpswap_b64 v[2:3], v9, v[14:17], s[2:3] offset:32 glc
	s_waitcnt vmcnt(0)
	v_cmpx_ne_u64_e64 v[2:3], v[16:17]
	s_cbranch_execz .LBB0_71
; %bb.69:                               ;   in Loop: Header=BB0_3 Depth=1
	s_mov_b32 s7, 0
.LBB0_70:                               ;   Parent Loop BB0_3 Depth=1
                                        ; =>  This Inner Loop Header: Depth=2
	v_dual_mov_b32 v0, s4 :: v_dual_mov_b32 v1, s5
	s_sleep 1
	global_store_b64 v[12:13], v[2:3], off
	s_waitcnt_vscnt null, 0x0
	global_atomic_cmpswap_b64 v[0:1], v9, v[0:3], s[2:3] offset:32 glc
	s_waitcnt vmcnt(0)
	v_cmp_eq_u64_e32 vcc_lo, v[0:1], v[2:3]
	v_dual_mov_b32 v3, v1 :: v_dual_mov_b32 v2, v0
	s_or_b32 s7, vcc_lo, s7
	s_delay_alu instid0(SALU_CYCLE_1)
	s_and_not1_b32 exec_lo, exec_lo, s7
	s_cbranch_execnz .LBB0_70
.LBB0_71:                               ;   in Loop: Header=BB0_3 Depth=1
	s_or_b32 exec_lo, exec_lo, s6
	global_load_b64 v[0:1], v9, s[2:3] offset:16
	s_mov_b32 s7, exec_lo
	s_mov_b32 s6, exec_lo
	v_mbcnt_lo_u32_b32 v2, s7, 0
	s_delay_alu instid0(VALU_DEP_1)
	v_cmpx_eq_u32_e32 0, v2
	s_cbranch_execz .LBB0_73
; %bb.72:                               ;   in Loop: Header=BB0_3 Depth=1
	s_bcnt1_i32_b32 s7, s7
	s_delay_alu instid0(SALU_CYCLE_1)
	v_mov_b32_e32 v8, s7
	s_waitcnt vmcnt(0)
	global_atomic_add_u64 v[0:1], v[8:9], off offset:8
.LBB0_73:                               ;   in Loop: Header=BB0_3 Depth=1
	s_or_b32 exec_lo, exec_lo, s6
	s_waitcnt vmcnt(0)
	global_load_b64 v[2:3], v[0:1], off offset:16
	s_waitcnt vmcnt(0)
	v_cmp_eq_u64_e32 vcc_lo, 0, v[2:3]
	s_cbranch_vccnz .LBB0_75
; %bb.74:                               ;   in Loop: Header=BB0_3 Depth=1
	global_load_b32 v8, v[0:1], off offset:24
	s_waitcnt vmcnt(0)
	v_and_b32_e32 v0, 0xffffff, v8
	s_waitcnt_vscnt null, 0x0
	global_store_b64 v[2:3], v[8:9], off
	v_readfirstlane_b32 m0, v0
	s_sendmsg sendmsg(MSG_INTERRUPT)
.LBB0_75:                               ;   in Loop: Header=BB0_3 Depth=1
	s_or_b32 exec_lo, exec_lo, s1
	v_add_co_u32 v0, vcc_lo, v26, v34
	v_add_co_ci_u32_e32 v1, vcc_lo, 0, v27, vcc_lo
	s_branch .LBB0_79
	.p2align	6
.LBB0_76:                               ;   in Loop: Header=BB0_79 Depth=2
	s_or_b32 exec_lo, exec_lo, s1
	s_delay_alu instid0(VALU_DEP_1) | instskip(NEXT) | instid1(VALU_DEP_1)
	v_readfirstlane_b32 s1, v2
	s_cmp_eq_u32 s1, 0
	s_cbranch_scc1 .LBB0_78
; %bb.77:                               ;   in Loop: Header=BB0_79 Depth=2
	s_sleep 1
	s_cbranch_execnz .LBB0_79
	s_branch .LBB0_81
	.p2align	6
.LBB0_78:                               ;   in Loop: Header=BB0_3 Depth=1
	s_branch .LBB0_81
.LBB0_79:                               ;   Parent Loop BB0_3 Depth=1
                                        ; =>  This Inner Loop Header: Depth=2
	v_mov_b32_e32 v2, 1
	s_and_saveexec_b32 s1, s0
	s_cbranch_execz .LBB0_76
; %bb.80:                               ;   in Loop: Header=BB0_79 Depth=2
	global_load_b32 v2, v[30:31], off offset:20 glc
	s_waitcnt vmcnt(0)
	buffer_gl1_inv
	buffer_gl0_inv
	v_and_b32_e32 v2, 1, v2
	s_branch .LBB0_76
.LBB0_81:                               ;   in Loop: Header=BB0_3 Depth=1
	global_load_b128 v[0:3], v[0:1], off
	s_and_saveexec_b32 s1, s0
	s_cbranch_execz .LBB0_2
; %bb.82:                               ;   in Loop: Header=BB0_3 Depth=1
	s_clause 0x2
	global_load_b64 v[2:3], v9, s[2:3] offset:40
	global_load_b64 v[16:17], v9, s[2:3] offset:24 glc
	global_load_b64 v[14:15], v9, s[2:3]
	s_waitcnt vmcnt(2)
	v_add_co_u32 v8, vcc_lo, v2, 1
	v_add_co_ci_u32_e32 v18, vcc_lo, 0, v3, vcc_lo
	s_delay_alu instid0(VALU_DEP_2) | instskip(NEXT) | instid1(VALU_DEP_2)
	v_add_co_u32 v12, vcc_lo, v8, s4
	v_add_co_ci_u32_e32 v13, vcc_lo, s5, v18, vcc_lo
	s_delay_alu instid0(VALU_DEP_1) | instskip(SKIP_1) | instid1(VALU_DEP_1)
	v_cmp_eq_u64_e32 vcc_lo, 0, v[12:13]
	v_dual_cndmask_b32 v13, v13, v18 :: v_dual_cndmask_b32 v12, v12, v8
	v_and_b32_e32 v3, v13, v3
	s_delay_alu instid0(VALU_DEP_2) | instskip(NEXT) | instid1(VALU_DEP_1)
	v_and_b32_e32 v2, v12, v2
	v_mul_hi_u32 v8, v2, 24
	v_mul_lo_u32 v2, v2, 24
	s_waitcnt vmcnt(0)
	s_delay_alu instid0(VALU_DEP_1) | instskip(SKIP_2) | instid1(VALU_DEP_1)
	v_add_co_u32 v2, vcc_lo, v14, v2
	v_mov_b32_e32 v14, v16
	v_mul_lo_u32 v3, v3, 24
	v_add_nc_u32_e32 v3, v8, v3
	s_delay_alu instid0(VALU_DEP_1)
	v_add_co_ci_u32_e32 v3, vcc_lo, v15, v3, vcc_lo
	v_mov_b32_e32 v15, v17
	global_store_b64 v[2:3], v[16:17], off
	s_waitcnt_vscnt null, 0x0
	global_atomic_cmpswap_b64 v[14:15], v9, v[12:15], s[2:3] offset:24 glc
	s_waitcnt vmcnt(0)
	v_cmp_ne_u64_e32 vcc_lo, v[14:15], v[16:17]
	s_and_b32 exec_lo, exec_lo, vcc_lo
	s_cbranch_execz .LBB0_2
; %bb.83:                               ;   in Loop: Header=BB0_3 Depth=1
	s_mov_b32 s0, 0
.LBB0_84:                               ;   Parent Loop BB0_3 Depth=1
                                        ; =>  This Inner Loop Header: Depth=2
	s_sleep 1
	global_store_b64 v[2:3], v[14:15], off
	s_waitcnt_vscnt null, 0x0
	global_atomic_cmpswap_b64 v[16:17], v9, v[12:15], s[2:3] offset:24 glc
	s_waitcnt vmcnt(0)
	v_cmp_eq_u64_e32 vcc_lo, v[16:17], v[14:15]
	v_dual_mov_b32 v14, v16 :: v_dual_mov_b32 v15, v17
	s_or_b32 s0, vcc_lo, s0
	s_delay_alu instid0(SALU_CYCLE_1)
	s_and_not1_b32 exec_lo, exec_lo, s0
	s_cbranch_execnz .LBB0_84
	s_branch .LBB0_2
.LBB0_85:
	s_or_b32 exec_lo, exec_lo, s11
                                        ; implicit-def: $vgpr3
                                        ; implicit-def: $vgpr32
.LBB0_86:
	s_and_not1_saveexec_b32 s1, s10
	s_cbranch_execz .LBB0_108
; %bb.87:
	s_load_b64 s[2:3], s[8:9], 0x50
	v_readfirstlane_b32 s0, v32
	v_mov_b32_e32 v8, 0
	v_mov_b32_e32 v9, 0
	s_delay_alu instid0(VALU_DEP_3) | instskip(NEXT) | instid1(VALU_DEP_1)
	v_cmp_eq_u32_e64 s0, s0, v32
	s_and_saveexec_b32 s4, s0
	s_cbranch_execz .LBB0_93
; %bb.88:
	s_waitcnt vmcnt(0)
	v_mov_b32_e32 v0, 0
	s_mov_b32 s5, exec_lo
	s_waitcnt lgkmcnt(0)
	global_load_b64 v[6:7], v0, s[2:3] offset:24 glc
	s_waitcnt vmcnt(0)
	buffer_gl1_inv
	buffer_gl0_inv
	s_clause 0x1
	global_load_b64 v[4:5], v0, s[2:3] offset:40
	global_load_b64 v[8:9], v0, s[2:3]
	s_waitcnt vmcnt(1)
	v_and_b32_e32 v2, v5, v7
	v_and_b32_e32 v4, v4, v6
	s_delay_alu instid0(VALU_DEP_2) | instskip(NEXT) | instid1(VALU_DEP_2)
	v_mul_lo_u32 v2, v2, 24
	v_mul_hi_u32 v5, v4, 24
	v_mul_lo_u32 v4, v4, 24
	s_delay_alu instid0(VALU_DEP_2) | instskip(SKIP_1) | instid1(VALU_DEP_2)
	v_add_nc_u32_e32 v2, v5, v2
	s_waitcnt vmcnt(0)
	v_add_co_u32 v4, vcc_lo, v8, v4
	s_delay_alu instid0(VALU_DEP_2)
	v_add_co_ci_u32_e32 v5, vcc_lo, v9, v2, vcc_lo
	global_load_b64 v[4:5], v[4:5], off glc
	s_waitcnt vmcnt(0)
	global_atomic_cmpswap_b64 v[8:9], v0, v[4:7], s[2:3] offset:24 glc
	s_waitcnt vmcnt(0)
	buffer_gl1_inv
	buffer_gl0_inv
	v_cmpx_ne_u64_e64 v[8:9], v[6:7]
	s_cbranch_execz .LBB0_92
; %bb.89:
	s_mov_b32 s6, 0
	.p2align	6
.LBB0_90:                               ; =>This Inner Loop Header: Depth=1
	s_sleep 1
	s_clause 0x1
	global_load_b64 v[4:5], v0, s[2:3] offset:40
	global_load_b64 v[10:11], v0, s[2:3]
	v_dual_mov_b32 v6, v8 :: v_dual_mov_b32 v7, v9
	s_waitcnt vmcnt(1)
	s_delay_alu instid0(VALU_DEP_1) | instskip(SKIP_1) | instid1(VALU_DEP_1)
	v_and_b32_e32 v2, v4, v6
	s_waitcnt vmcnt(0)
	v_mad_u64_u32 v[8:9], null, v2, 24, v[10:11]
	v_and_b32_e32 v10, v5, v7
	s_delay_alu instid0(VALU_DEP_2) | instskip(NEXT) | instid1(VALU_DEP_1)
	v_mov_b32_e32 v2, v9
	v_mad_u64_u32 v[4:5], null, v10, 24, v[2:3]
	s_delay_alu instid0(VALU_DEP_1)
	v_mov_b32_e32 v9, v4
	global_load_b64 v[4:5], v[8:9], off glc
	s_waitcnt vmcnt(0)
	global_atomic_cmpswap_b64 v[8:9], v0, v[4:7], s[2:3] offset:24 glc
	s_waitcnt vmcnt(0)
	buffer_gl1_inv
	buffer_gl0_inv
	v_cmp_eq_u64_e32 vcc_lo, v[8:9], v[6:7]
	s_or_b32 s6, vcc_lo, s6
	s_delay_alu instid0(SALU_CYCLE_1)
	s_and_not1_b32 exec_lo, exec_lo, s6
	s_cbranch_execnz .LBB0_90
; %bb.91:
	s_or_b32 exec_lo, exec_lo, s6
.LBB0_92:
	s_delay_alu instid0(SALU_CYCLE_1)
	s_or_b32 exec_lo, exec_lo, s5
.LBB0_93:
	s_delay_alu instid0(SALU_CYCLE_1)
	s_or_b32 exec_lo, exec_lo, s4
	s_waitcnt vmcnt(0)
	v_mov_b32_e32 v2, 0
	v_readfirstlane_b32 s4, v8
	v_readfirstlane_b32 s5, v9
	s_mov_b32 s8, exec_lo
	s_waitcnt lgkmcnt(0)
	s_clause 0x1
	global_load_b64 v[10:11], v2, s[2:3] offset:40
	global_load_b128 v[4:7], v2, s[2:3]
	s_waitcnt vmcnt(1)
	v_readfirstlane_b32 s6, v10
	v_readfirstlane_b32 s7, v11
	s_delay_alu instid0(VALU_DEP_1) | instskip(NEXT) | instid1(SALU_CYCLE_1)
	s_and_b64 s[6:7], s[4:5], s[6:7]
	s_mul_i32 s9, s7, 24
	s_mul_hi_u32 s10, s6, 24
	s_mul_i32 s11, s6, 24
	s_add_i32 s10, s10, s9
	s_waitcnt vmcnt(0)
	v_add_co_u32 v8, vcc_lo, v4, s11
	v_add_co_ci_u32_e32 v9, vcc_lo, s10, v5, vcc_lo
	s_and_saveexec_b32 s9, s0
	s_cbranch_execz .LBB0_95
; %bb.94:
	v_dual_mov_b32 v10, s8 :: v_dual_mov_b32 v11, v2
	v_dual_mov_b32 v12, 2 :: v_dual_mov_b32 v13, 1
	global_store_b128 v[8:9], v[10:13], off offset:8
.LBB0_95:
	s_or_b32 exec_lo, exec_lo, s9
	s_lshl_b64 s[6:7], s[6:7], 12
	v_lshlrev_b32_e32 v14, 6, v32
	v_add_co_u32 v6, vcc_lo, v6, s6
	v_add_co_ci_u32_e32 v7, vcc_lo, s7, v7, vcc_lo
	s_mov_b32 s8, 0
	v_and_or_b32 v0, 0xffffff1f, v3, 32
	v_mov_b32_e32 v3, v2
	v_readfirstlane_b32 s6, v6
	s_mov_b32 s11, s8
	v_add_co_u32 v6, vcc_lo, v6, v14
	s_mov_b32 s9, s8
	s_mov_b32 s10, s8
	v_readfirstlane_b32 s7, v7
	v_dual_mov_b32 v13, s11 :: v_dual_mov_b32 v12, s10
	v_add_co_ci_u32_e32 v7, vcc_lo, 0, v7, vcc_lo
	v_dual_mov_b32 v11, s9 :: v_dual_mov_b32 v10, s8
	s_clause 0x3
	global_store_b128 v14, v[0:3], s[6:7]
	global_store_b128 v14, v[10:13], s[6:7] offset:16
	global_store_b128 v14, v[10:13], s[6:7] offset:32
	;; [unrolled: 1-line block ×3, first 2 shown]
	s_and_saveexec_b32 s6, s0
	s_cbranch_execz .LBB0_102
; %bb.96:
	v_mov_b32_e32 v10, 0
	s_mov_b32 s7, exec_lo
	s_clause 0x1
	global_load_b64 v[13:14], v10, s[2:3] offset:32 glc
	global_load_b64 v[0:1], v10, s[2:3] offset:40
	v_dual_mov_b32 v11, s4 :: v_dual_mov_b32 v12, s5
	s_waitcnt vmcnt(0)
	v_and_b32_e32 v1, s5, v1
	v_and_b32_e32 v0, s4, v0
	s_delay_alu instid0(VALU_DEP_2) | instskip(NEXT) | instid1(VALU_DEP_2)
	v_mul_lo_u32 v1, v1, 24
	v_mul_hi_u32 v2, v0, 24
	v_mul_lo_u32 v0, v0, 24
	s_delay_alu instid0(VALU_DEP_2) | instskip(NEXT) | instid1(VALU_DEP_2)
	v_add_nc_u32_e32 v1, v2, v1
	v_add_co_u32 v4, vcc_lo, v4, v0
	s_delay_alu instid0(VALU_DEP_2)
	v_add_co_ci_u32_e32 v5, vcc_lo, v5, v1, vcc_lo
	global_store_b64 v[4:5], v[13:14], off
	s_waitcnt_vscnt null, 0x0
	global_atomic_cmpswap_b64 v[2:3], v10, v[11:14], s[2:3] offset:32 glc
	s_waitcnt vmcnt(0)
	v_cmpx_ne_u64_e64 v[2:3], v[13:14]
	s_cbranch_execz .LBB0_98
.LBB0_97:                               ; =>This Inner Loop Header: Depth=1
	v_dual_mov_b32 v0, s4 :: v_dual_mov_b32 v1, s5
	s_sleep 1
	global_store_b64 v[4:5], v[2:3], off
	s_waitcnt_vscnt null, 0x0
	global_atomic_cmpswap_b64 v[0:1], v10, v[0:3], s[2:3] offset:32 glc
	s_waitcnt vmcnt(0)
	v_cmp_eq_u64_e32 vcc_lo, v[0:1], v[2:3]
	v_dual_mov_b32 v3, v1 :: v_dual_mov_b32 v2, v0
	s_or_b32 s8, vcc_lo, s8
	s_delay_alu instid0(SALU_CYCLE_1)
	s_and_not1_b32 exec_lo, exec_lo, s8
	s_cbranch_execnz .LBB0_97
.LBB0_98:
	s_or_b32 exec_lo, exec_lo, s7
	v_mov_b32_e32 v3, 0
	s_mov_b32 s8, exec_lo
	s_mov_b32 s7, exec_lo
	v_mbcnt_lo_u32_b32 v2, s8, 0
	global_load_b64 v[0:1], v3, s[2:3] offset:16
	v_cmpx_eq_u32_e32 0, v2
	s_cbranch_execz .LBB0_100
; %bb.99:
	s_bcnt1_i32_b32 s8, s8
	s_delay_alu instid0(SALU_CYCLE_1)
	v_mov_b32_e32 v2, s8
	s_waitcnt vmcnt(0)
	global_atomic_add_u64 v[0:1], v[2:3], off offset:8
.LBB0_100:
	s_or_b32 exec_lo, exec_lo, s7
	s_waitcnt vmcnt(0)
	global_load_b64 v[2:3], v[0:1], off offset:16
	s_waitcnt vmcnt(0)
	v_cmp_eq_u64_e32 vcc_lo, 0, v[2:3]
	s_cbranch_vccnz .LBB0_102
; %bb.101:
	global_load_b32 v0, v[0:1], off offset:24
	s_waitcnt vmcnt(0)
	v_dual_mov_b32 v1, 0 :: v_dual_and_b32 v4, 0xffffff, v0
	s_waitcnt_vscnt null, 0x0
	global_store_b64 v[2:3], v[0:1], off
	v_readfirstlane_b32 m0, v4
	s_sendmsg sendmsg(MSG_INTERRUPT)
.LBB0_102:
	s_or_b32 exec_lo, exec_lo, s6
	s_branch .LBB0_106
	.p2align	6
.LBB0_103:                              ;   in Loop: Header=BB0_106 Depth=1
	s_or_b32 exec_lo, exec_lo, s6
	s_delay_alu instid0(VALU_DEP_1) | instskip(NEXT) | instid1(VALU_DEP_1)
	v_readfirstlane_b32 s6, v0
	s_cmp_eq_u32 s6, 0
	s_cbranch_scc1 .LBB0_105
; %bb.104:                              ;   in Loop: Header=BB0_106 Depth=1
	s_sleep 1
	s_cbranch_execnz .LBB0_106
	s_branch .LBB0_109
	.p2align	6
.LBB0_105:
	s_branch .LBB0_109
.LBB0_106:                              ; =>This Inner Loop Header: Depth=1
	v_mov_b32_e32 v0, 1
	s_and_saveexec_b32 s6, s0
	s_cbranch_execz .LBB0_103
; %bb.107:                              ;   in Loop: Header=BB0_106 Depth=1
	global_load_b32 v0, v[8:9], off offset:20 glc
	s_waitcnt vmcnt(0)
	buffer_gl1_inv
	buffer_gl0_inv
	v_and_b32_e32 v0, 1, v0
	s_branch .LBB0_103
.LBB0_108:
	s_or_b32 exec_lo, exec_lo, s1
	s_waitcnt vmcnt(0) lgkmcnt(0)
	s_setpc_b64 s[30:31]
.LBB0_109:
	global_load_b64 v[0:1], v[6:7], off
	s_and_saveexec_b32 s6, s0
	s_cbranch_execz .LBB0_113
; %bb.110:
	v_mov_b32_e32 v8, 0
	s_clause 0x2
	global_load_b64 v[4:5], v8, s[2:3] offset:40
	global_load_b64 v[9:10], v8, s[2:3] offset:24 glc
	global_load_b64 v[6:7], v8, s[2:3]
	s_waitcnt vmcnt(2)
	v_add_co_u32 v11, vcc_lo, v4, 1
	v_add_co_ci_u32_e32 v12, vcc_lo, 0, v5, vcc_lo
	s_delay_alu instid0(VALU_DEP_2) | instskip(NEXT) | instid1(VALU_DEP_2)
	v_add_co_u32 v2, vcc_lo, v11, s4
	v_add_co_ci_u32_e32 v3, vcc_lo, s5, v12, vcc_lo
	s_delay_alu instid0(VALU_DEP_1) | instskip(SKIP_1) | instid1(VALU_DEP_1)
	v_cmp_eq_u64_e32 vcc_lo, 0, v[2:3]
	v_dual_cndmask_b32 v3, v3, v12 :: v_dual_cndmask_b32 v2, v2, v11
	v_and_b32_e32 v5, v3, v5
	s_delay_alu instid0(VALU_DEP_2) | instskip(NEXT) | instid1(VALU_DEP_2)
	v_and_b32_e32 v4, v2, v4
	v_mul_lo_u32 v5, v5, 24
	s_delay_alu instid0(VALU_DEP_2) | instskip(SKIP_1) | instid1(VALU_DEP_2)
	v_mul_hi_u32 v11, v4, 24
	v_mul_lo_u32 v4, v4, 24
	v_add_nc_u32_e32 v5, v11, v5
	s_waitcnt vmcnt(0)
	s_delay_alu instid0(VALU_DEP_2) | instskip(SKIP_1) | instid1(VALU_DEP_3)
	v_add_co_u32 v6, vcc_lo, v6, v4
	v_mov_b32_e32 v4, v9
	v_add_co_ci_u32_e32 v7, vcc_lo, v7, v5, vcc_lo
	v_mov_b32_e32 v5, v10
	global_store_b64 v[6:7], v[9:10], off
	s_waitcnt_vscnt null, 0x0
	global_atomic_cmpswap_b64 v[4:5], v8, v[2:5], s[2:3] offset:24 glc
	s_waitcnt vmcnt(0)
	v_cmp_ne_u64_e32 vcc_lo, v[4:5], v[9:10]
	s_and_b32 exec_lo, exec_lo, vcc_lo
	s_cbranch_execz .LBB0_113
; %bb.111:
	s_mov_b32 s0, 0
.LBB0_112:                              ; =>This Inner Loop Header: Depth=1
	s_sleep 1
	global_store_b64 v[6:7], v[4:5], off
	s_waitcnt_vscnt null, 0x0
	global_atomic_cmpswap_b64 v[9:10], v8, v[2:5], s[2:3] offset:24 glc
	s_waitcnt vmcnt(0)
	v_cmp_eq_u64_e32 vcc_lo, v[9:10], v[4:5]
	v_dual_mov_b32 v4, v9 :: v_dual_mov_b32 v5, v10
	s_or_b32 s0, vcc_lo, s0
	s_delay_alu instid0(SALU_CYCLE_1)
	s_and_not1_b32 exec_lo, exec_lo, s0
	s_cbranch_execnz .LBB0_112
.LBB0_113:
	s_or_b32 exec_lo, exec_lo, s6
	s_delay_alu instid0(SALU_CYCLE_1)
	s_or_b32 exec_lo, exec_lo, s1
	s_waitcnt vmcnt(0) lgkmcnt(0)
	s_setpc_b64 s[30:31]
.Lfunc_end0:
	.size	__ockl_printf_append_string_n, .Lfunc_end0-__ockl_printf_append_string_n
                                        ; -- End function
	.section	.AMDGPU.csdata,"",@progbits
; Function info:
; codeLenInByte = 4760
; NumSgprs: 34
; NumVgprs: 36
; ScratchSize: 0
; MemoryBound: 0
	.text
	.p2align	2                               ; -- Begin function __ockl_printf_append_args
	.type	__ockl_printf_append_args,@function
__ockl_printf_append_args:              ; @__ockl_printf_append_args
; %bb.0:
	s_waitcnt vmcnt(0) expcnt(0) lgkmcnt(0)
	s_load_b64 s[2:3], s[8:9], 0x50
	v_mbcnt_lo_u32_b32 v15, -1, 0
	v_mov_b32_e32 v11, 0
	v_mov_b32_e32 v12, 0
	s_delay_alu instid0(VALU_DEP_3) | instskip(NEXT) | instid1(VALU_DEP_1)
	v_readfirstlane_b32 s0, v15
	v_cmp_eq_u32_e64 s0, s0, v15
	s_delay_alu instid0(VALU_DEP_1)
	s_and_saveexec_b32 s1, s0
	s_cbranch_execz .LBB1_6
; %bb.1:
	v_mov_b32_e32 v5, 0
	s_mov_b32 s4, exec_lo
	s_waitcnt lgkmcnt(0)
	global_load_b64 v[8:9], v5, s[2:3] offset:24 glc
	s_waitcnt vmcnt(0)
	buffer_gl1_inv
	buffer_gl0_inv
	s_clause 0x1
	global_load_b64 v[6:7], v5, s[2:3] offset:40
	global_load_b64 v[10:11], v5, s[2:3]
	s_waitcnt vmcnt(1)
	v_and_b32_e32 v6, v6, v8
	v_and_b32_e32 v7, v7, v9
	s_delay_alu instid0(VALU_DEP_2) | instskip(NEXT) | instid1(VALU_DEP_2)
	v_mul_hi_u32 v12, v6, 24
	v_mul_lo_u32 v7, v7, 24
	v_mul_lo_u32 v6, v6, 24
	s_delay_alu instid0(VALU_DEP_2) | instskip(SKIP_1) | instid1(VALU_DEP_2)
	v_add_nc_u32_e32 v7, v12, v7
	s_waitcnt vmcnt(0)
	v_add_co_u32 v6, vcc_lo, v10, v6
	s_delay_alu instid0(VALU_DEP_2)
	v_add_co_ci_u32_e32 v7, vcc_lo, v11, v7, vcc_lo
	global_load_b64 v[6:7], v[6:7], off glc
	s_waitcnt vmcnt(0)
	global_atomic_cmpswap_b64 v[11:12], v5, v[6:9], s[2:3] offset:24 glc
	s_waitcnt vmcnt(0)
	buffer_gl1_inv
	buffer_gl0_inv
	v_cmpx_ne_u64_e64 v[11:12], v[8:9]
	s_cbranch_execz .LBB1_5
; %bb.2:
	s_mov_b32 s5, 0
	.p2align	6
.LBB1_3:                                ; =>This Inner Loop Header: Depth=1
	s_sleep 1
	s_clause 0x1
	global_load_b64 v[6:7], v5, s[2:3] offset:40
	global_load_b64 v[13:14], v5, s[2:3]
	v_dual_mov_b32 v8, v11 :: v_dual_mov_b32 v9, v12
	s_waitcnt vmcnt(1)
	s_delay_alu instid0(VALU_DEP_1) | instskip(NEXT) | instid1(VALU_DEP_2)
	v_and_b32_e32 v6, v6, v8
	v_and_b32_e32 v7, v7, v9
	s_waitcnt vmcnt(0)
	s_delay_alu instid0(VALU_DEP_2) | instskip(NEXT) | instid1(VALU_DEP_1)
	v_mad_u64_u32 v[10:11], null, v6, 24, v[13:14]
	v_mov_b32_e32 v6, v11
	s_delay_alu instid0(VALU_DEP_1)
	v_mad_u64_u32 v[11:12], null, v7, 24, v[6:7]
	global_load_b64 v[6:7], v[10:11], off glc
	s_waitcnt vmcnt(0)
	global_atomic_cmpswap_b64 v[11:12], v5, v[6:9], s[2:3] offset:24 glc
	s_waitcnt vmcnt(0)
	buffer_gl1_inv
	buffer_gl0_inv
	v_cmp_eq_u64_e32 vcc_lo, v[11:12], v[8:9]
	s_or_b32 s5, vcc_lo, s5
	s_delay_alu instid0(SALU_CYCLE_1)
	s_and_not1_b32 exec_lo, exec_lo, s5
	s_cbranch_execnz .LBB1_3
; %bb.4:
	s_or_b32 exec_lo, exec_lo, s5
.LBB1_5:
	s_delay_alu instid0(SALU_CYCLE_1)
	s_or_b32 exec_lo, exec_lo, s4
.LBB1_6:
	s_delay_alu instid0(SALU_CYCLE_1)
	s_or_b32 exec_lo, exec_lo, s1
	v_mov_b32_e32 v10, 0
	v_readfirstlane_b32 s4, v11
	v_readfirstlane_b32 s5, v12
	s_mov_b32 s1, exec_lo
	s_waitcnt lgkmcnt(0)
	s_clause 0x1
	global_load_b64 v[13:14], v10, s[2:3] offset:40
	global_load_b128 v[5:8], v10, s[2:3]
	s_waitcnt vmcnt(1)
	v_readfirstlane_b32 s6, v13
	v_readfirstlane_b32 s7, v14
	s_delay_alu instid0(VALU_DEP_1) | instskip(NEXT) | instid1(SALU_CYCLE_1)
	s_and_b64 s[6:7], s[4:5], s[6:7]
	s_mul_i32 s8, s7, 24
	s_mul_hi_u32 s9, s6, 24
	s_mul_i32 s10, s6, 24
	s_add_i32 s9, s9, s8
	s_waitcnt vmcnt(0)
	v_add_co_u32 v13, vcc_lo, v5, s10
	v_add_co_ci_u32_e32 v14, vcc_lo, s9, v6, vcc_lo
	s_and_saveexec_b32 s8, s0
	s_cbranch_execz .LBB1_8
; %bb.7:
	v_dual_mov_b32 v9, s1 :: v_dual_mov_b32 v12, 1
	v_mov_b32_e32 v11, 2
	global_store_b128 v[13:14], v[9:12], off offset:8
.LBB1_8:
	s_or_b32 exec_lo, exec_lo, s8
	v_or_b32_e32 v9, 2, v0
	v_cmp_eq_u32_e32 vcc_lo, 0, v4
	s_lshl_b64 s[6:7], s[6:7], 12
	s_mov_b32 s8, 0
	v_lshlrev_b32_e32 v11, 6, v15
	s_mov_b32 s9, s8
	v_cndmask_b32_e32 v0, v9, v0, vcc_lo
	v_add_co_u32 v4, vcc_lo, v7, s6
	v_add_co_ci_u32_e32 v7, vcc_lo, s7, v8, vcc_lo
	s_mov_b32 s10, s8
	s_mov_b32 s11, s8
	v_and_or_b32 v0, 0xffffff1f, v0, 32
	v_readfirstlane_b32 s6, v4
	v_readfirstlane_b32 s7, v7
	v_dual_mov_b32 v7, s8 :: v_dual_mov_b32 v8, s9
	v_dual_mov_b32 v9, s10 :: v_dual_mov_b32 v10, s11
	s_clause 0x3
	global_store_b128 v11, v[0:3], s[6:7]
	global_store_b128 v11, v[7:10], s[6:7] offset:16
	global_store_b128 v11, v[7:10], s[6:7] offset:32
	;; [unrolled: 1-line block ×3, first 2 shown]
	s_and_saveexec_b32 s1, s0
	s_cbranch_execz .LBB1_16
; %bb.9:
	v_mov_b32_e32 v7, 0
	v_mov_b32_e32 v9, s5
	s_mov_b32 s6, exec_lo
	s_clause 0x1
	global_load_b64 v[10:11], v7, s[2:3] offset:32 glc
	global_load_b64 v[0:1], v7, s[2:3] offset:40
	v_mov_b32_e32 v8, s4
	s_waitcnt vmcnt(0)
	v_and_b32_e32 v0, s4, v0
	v_and_b32_e32 v1, s5, v1
	s_delay_alu instid0(VALU_DEP_2) | instskip(NEXT) | instid1(VALU_DEP_2)
	v_mul_hi_u32 v2, v0, 24
	v_mul_lo_u32 v1, v1, 24
	v_mul_lo_u32 v0, v0, 24
	s_delay_alu instid0(VALU_DEP_2) | instskip(NEXT) | instid1(VALU_DEP_2)
	v_add_nc_u32_e32 v1, v2, v1
	v_add_co_u32 v4, vcc_lo, v5, v0
	s_delay_alu instid0(VALU_DEP_2)
	v_add_co_ci_u32_e32 v5, vcc_lo, v6, v1, vcc_lo
	global_store_b64 v[4:5], v[10:11], off
	s_waitcnt_vscnt null, 0x0
	global_atomic_cmpswap_b64 v[2:3], v7, v[8:11], s[2:3] offset:32 glc
	s_waitcnt vmcnt(0)
	v_cmpx_ne_u64_e64 v[2:3], v[10:11]
	s_cbranch_execz .LBB1_12
; %bb.10:
	s_mov_b32 s7, 0
.LBB1_11:                               ; =>This Inner Loop Header: Depth=1
	v_dual_mov_b32 v0, s4 :: v_dual_mov_b32 v1, s5
	s_sleep 1
	global_store_b64 v[4:5], v[2:3], off
	s_waitcnt_vscnt null, 0x0
	global_atomic_cmpswap_b64 v[0:1], v7, v[0:3], s[2:3] offset:32 glc
	s_waitcnt vmcnt(0)
	v_cmp_eq_u64_e32 vcc_lo, v[0:1], v[2:3]
	v_dual_mov_b32 v3, v1 :: v_dual_mov_b32 v2, v0
	s_or_b32 s7, vcc_lo, s7
	s_delay_alu instid0(SALU_CYCLE_1)
	s_and_not1_b32 exec_lo, exec_lo, s7
	s_cbranch_execnz .LBB1_11
.LBB1_12:
	s_or_b32 exec_lo, exec_lo, s6
	v_mov_b32_e32 v3, 0
	s_mov_b32 s7, exec_lo
	s_mov_b32 s6, exec_lo
	v_mbcnt_lo_u32_b32 v2, s7, 0
	global_load_b64 v[0:1], v3, s[2:3] offset:16
	v_cmpx_eq_u32_e32 0, v2
	s_cbranch_execz .LBB1_14
; %bb.13:
	s_bcnt1_i32_b32 s7, s7
	s_delay_alu instid0(SALU_CYCLE_1)
	v_mov_b32_e32 v2, s7
	s_waitcnt vmcnt(0)
	global_atomic_add_u64 v[0:1], v[2:3], off offset:8
.LBB1_14:
	s_or_b32 exec_lo, exec_lo, s6
	s_waitcnt vmcnt(0)
	global_load_b64 v[2:3], v[0:1], off offset:16
	s_waitcnt vmcnt(0)
	v_cmp_eq_u64_e32 vcc_lo, 0, v[2:3]
	s_cbranch_vccnz .LBB1_16
; %bb.15:
	global_load_b32 v0, v[0:1], off offset:24
	s_waitcnt vmcnt(0)
	v_dual_mov_b32 v1, 0 :: v_dual_and_b32 v4, 0xffffff, v0
	s_waitcnt_vscnt null, 0x0
	global_store_b64 v[2:3], v[0:1], off
	v_readfirstlane_b32 m0, v4
	s_sendmsg sendmsg(MSG_INTERRUPT)
.LBB1_16:
	s_or_b32 exec_lo, exec_lo, s1
	s_branch .LBB1_20
	.p2align	6
.LBB1_17:                               ;   in Loop: Header=BB1_20 Depth=1
	s_or_b32 exec_lo, exec_lo, s1
	s_delay_alu instid0(VALU_DEP_1) | instskip(NEXT) | instid1(VALU_DEP_1)
	v_readfirstlane_b32 s1, v0
	s_cmp_eq_u32 s1, 0
	s_cbranch_scc1 .LBB1_19
; %bb.18:                               ;   in Loop: Header=BB1_20 Depth=1
	s_sleep 1
	s_cbranch_execnz .LBB1_20
	s_branch .LBB1_22
	.p2align	6
.LBB1_19:
	s_branch .LBB1_22
.LBB1_20:                               ; =>This Inner Loop Header: Depth=1
	v_mov_b32_e32 v0, 1
	s_and_saveexec_b32 s1, s0
	s_cbranch_execz .LBB1_17
; %bb.21:                               ;   in Loop: Header=BB1_20 Depth=1
	global_load_b32 v0, v[13:14], off offset:20 glc
	s_waitcnt vmcnt(0)
	buffer_gl1_inv
	buffer_gl0_inv
	v_and_b32_e32 v0, 1, v0
	s_branch .LBB1_17
.LBB1_22:
	s_and_saveexec_b32 s1, s0
	s_cbranch_execz .LBB1_26
; %bb.23:
	v_mov_b32_e32 v6, 0
	s_clause 0x2
	global_load_b64 v[2:3], v6, s[2:3] offset:40
	global_load_b64 v[7:8], v6, s[2:3] offset:24 glc
	global_load_b64 v[4:5], v6, s[2:3]
	s_waitcnt vmcnt(2)
	v_add_co_u32 v9, vcc_lo, v2, 1
	v_add_co_ci_u32_e32 v10, vcc_lo, 0, v3, vcc_lo
	s_delay_alu instid0(VALU_DEP_2) | instskip(NEXT) | instid1(VALU_DEP_2)
	v_add_co_u32 v0, vcc_lo, v9, s4
	v_add_co_ci_u32_e32 v1, vcc_lo, s5, v10, vcc_lo
	s_delay_alu instid0(VALU_DEP_1) | instskip(SKIP_1) | instid1(VALU_DEP_1)
	v_cmp_eq_u64_e32 vcc_lo, 0, v[0:1]
	v_dual_cndmask_b32 v1, v1, v10 :: v_dual_cndmask_b32 v0, v0, v9
	v_and_b32_e32 v3, v1, v3
	s_delay_alu instid0(VALU_DEP_2) | instskip(NEXT) | instid1(VALU_DEP_2)
	v_and_b32_e32 v2, v0, v2
	v_mul_lo_u32 v3, v3, 24
	s_delay_alu instid0(VALU_DEP_2) | instskip(SKIP_1) | instid1(VALU_DEP_2)
	v_mul_hi_u32 v9, v2, 24
	v_mul_lo_u32 v2, v2, 24
	v_add_nc_u32_e32 v3, v9, v3
	s_waitcnt vmcnt(0)
	s_delay_alu instid0(VALU_DEP_2) | instskip(SKIP_1) | instid1(VALU_DEP_3)
	v_add_co_u32 v4, vcc_lo, v4, v2
	v_mov_b32_e32 v2, v7
	v_add_co_ci_u32_e32 v5, vcc_lo, v5, v3, vcc_lo
	v_mov_b32_e32 v3, v8
	global_store_b64 v[4:5], v[7:8], off
	s_waitcnt_vscnt null, 0x0
	global_atomic_cmpswap_b64 v[2:3], v6, v[0:3], s[2:3] offset:24 glc
	s_waitcnt vmcnt(0)
	v_cmp_ne_u64_e32 vcc_lo, v[2:3], v[7:8]
	s_and_b32 exec_lo, exec_lo, vcc_lo
	s_cbranch_execz .LBB1_26
; %bb.24:
	s_mov_b32 s0, 0
.LBB1_25:                               ; =>This Inner Loop Header: Depth=1
	s_sleep 1
	global_store_b64 v[4:5], v[2:3], off
	s_waitcnt_vscnt null, 0x0
	global_atomic_cmpswap_b64 v[7:8], v6, v[0:3], s[2:3] offset:24 glc
	s_waitcnt vmcnt(0)
	v_cmp_eq_u64_e32 vcc_lo, v[7:8], v[2:3]
	v_dual_mov_b32 v2, v7 :: v_dual_mov_b32 v3, v8
	s_or_b32 s0, vcc_lo, s0
	s_delay_alu instid0(SALU_CYCLE_1)
	s_and_not1_b32 exec_lo, exec_lo, s0
	s_cbranch_execnz .LBB1_25
.LBB1_26:
	s_or_b32 exec_lo, exec_lo, s1
	s_waitcnt lgkmcnt(0)
	s_setpc_b64 s[30:31]
.Lfunc_end1:
	.size	__ockl_printf_append_args, .Lfunc_end1-__ockl_printf_append_args
                                        ; -- End function
	.section	.AMDGPU.csdata,"",@progbits
; Function info:
; codeLenInByte = 1352
; NumSgprs: 34
; NumVgprs: 16
; ScratchSize: 0
; MemoryBound: 0
	.text
	.p2align	2                               ; -- Begin function _ZL14no_device_codePKciS0_iS0_
	.type	_ZL14no_device_codePKciS0_iS0_,@function
_ZL14no_device_codePKciS0_iS0_:         ; @_ZL14no_device_codePKciS0_iS0_
; %bb.0:
	s_waitcnt vmcnt(0) expcnt(0) lgkmcnt(0)
	s_mov_b32 s20, s33
	s_mov_b32 s33, s32
	s_xor_saveexec_b32 s0, -1
	scratch_store_b32 off, v36, s33         ; 4-byte Folded Spill
	s_mov_b32 exec_lo, s0
	v_writelane_b32 v36, s30, 0
	s_add_i32 s32, s32, 16
	v_writelane_b32 v36, s31, 1
	s_load_b64 s[2:3], s[8:9], 0x50
	v_mbcnt_lo_u32_b32 v33, -1, 0
	v_mov_b32_e32 v7, 0
	v_mov_b32_e32 v8, 0
	s_delay_alu instid0(VALU_DEP_3) | instskip(NEXT) | instid1(VALU_DEP_1)
	v_readfirstlane_b32 s0, v33
	v_cmp_eq_u32_e64 s0, s0, v33
	s_delay_alu instid0(VALU_DEP_1)
	s_and_saveexec_b32 s1, s0
	s_cbranch_execz .LBB2_6
; %bb.1:
	v_mov_b32_e32 v1, 0
	s_mov_b32 s4, exec_lo
	s_waitcnt lgkmcnt(0)
	global_load_b64 v[4:5], v1, s[2:3] offset:24 glc
	s_waitcnt vmcnt(0)
	buffer_gl1_inv
	buffer_gl0_inv
	s_clause 0x1
	global_load_b64 v[2:3], v1, s[2:3] offset:40
	global_load_b64 v[6:7], v1, s[2:3]
	s_waitcnt vmcnt(1)
	v_and_b32_e32 v2, v2, v4
	v_and_b32_e32 v3, v3, v5
	s_delay_alu instid0(VALU_DEP_2) | instskip(NEXT) | instid1(VALU_DEP_2)
	v_mul_hi_u32 v8, v2, 24
	v_mul_lo_u32 v3, v3, 24
	v_mul_lo_u32 v2, v2, 24
	s_delay_alu instid0(VALU_DEP_2) | instskip(SKIP_1) | instid1(VALU_DEP_2)
	v_add_nc_u32_e32 v3, v8, v3
	s_waitcnt vmcnt(0)
	v_add_co_u32 v2, vcc_lo, v6, v2
	s_delay_alu instid0(VALU_DEP_2)
	v_add_co_ci_u32_e32 v3, vcc_lo, v7, v3, vcc_lo
	global_load_b64 v[2:3], v[2:3], off glc
	s_waitcnt vmcnt(0)
	global_atomic_cmpswap_b64 v[7:8], v1, v[2:5], s[2:3] offset:24 glc
	s_waitcnt vmcnt(0)
	buffer_gl1_inv
	buffer_gl0_inv
	v_cmpx_ne_u64_e64 v[7:8], v[4:5]
	s_cbranch_execz .LBB2_5
; %bb.2:
	s_mov_b32 s5, 0
	.p2align	6
.LBB2_3:                                ; =>This Inner Loop Header: Depth=1
	s_sleep 1
	s_clause 0x1
	global_load_b64 v[2:3], v1, s[2:3] offset:40
	global_load_b64 v[9:10], v1, s[2:3]
	v_dual_mov_b32 v4, v7 :: v_dual_mov_b32 v5, v8
	s_waitcnt vmcnt(1)
	s_delay_alu instid0(VALU_DEP_1) | instskip(NEXT) | instid1(VALU_DEP_2)
	v_and_b32_e32 v2, v2, v4
	v_and_b32_e32 v3, v3, v5
	s_waitcnt vmcnt(0)
	s_delay_alu instid0(VALU_DEP_2) | instskip(NEXT) | instid1(VALU_DEP_1)
	v_mad_u64_u32 v[6:7], null, v2, 24, v[9:10]
	v_mov_b32_e32 v2, v7
	s_delay_alu instid0(VALU_DEP_1)
	v_mad_u64_u32 v[7:8], null, v3, 24, v[2:3]
	global_load_b64 v[2:3], v[6:7], off glc
	s_waitcnt vmcnt(0)
	global_atomic_cmpswap_b64 v[7:8], v1, v[2:5], s[2:3] offset:24 glc
	s_waitcnt vmcnt(0)
	buffer_gl1_inv
	buffer_gl0_inv
	v_cmp_eq_u64_e32 vcc_lo, v[7:8], v[4:5]
	s_or_b32 s5, vcc_lo, s5
	s_delay_alu instid0(SALU_CYCLE_1)
	s_and_not1_b32 exec_lo, exec_lo, s5
	s_cbranch_execnz .LBB2_3
; %bb.4:
	s_or_b32 exec_lo, exec_lo, s5
.LBB2_5:
	s_delay_alu instid0(SALU_CYCLE_1)
	s_or_b32 exec_lo, exec_lo, s4
.LBB2_6:
	s_delay_alu instid0(SALU_CYCLE_1)
	s_or_b32 exec_lo, exec_lo, s1
	v_mov_b32_e32 v6, 0
	v_readfirstlane_b32 s4, v7
	v_readfirstlane_b32 s5, v8
	s_mov_b32 s1, exec_lo
	s_waitcnt lgkmcnt(0)
	s_clause 0x1
	global_load_b64 v[9:10], v6, s[2:3] offset:40
	global_load_b128 v[1:4], v6, s[2:3]
	s_waitcnt vmcnt(1)
	v_readfirstlane_b32 s6, v9
	v_readfirstlane_b32 s7, v10
	s_delay_alu instid0(VALU_DEP_1) | instskip(NEXT) | instid1(SALU_CYCLE_1)
	s_and_b64 s[6:7], s[4:5], s[6:7]
	s_mul_i32 s10, s7, 24
	s_mul_hi_u32 s11, s6, 24
	s_mul_i32 s12, s6, 24
	s_add_i32 s11, s11, s10
	s_waitcnt vmcnt(0)
	v_add_co_u32 v9, vcc_lo, v1, s12
	v_add_co_ci_u32_e32 v10, vcc_lo, s11, v2, vcc_lo
	s_and_saveexec_b32 s10, s0
	s_cbranch_execz .LBB2_8
; %bb.7:
	v_dual_mov_b32 v5, s1 :: v_dual_mov_b32 v8, 1
	v_mov_b32_e32 v7, 2
	global_store_b128 v[9:10], v[5:8], off offset:8
.LBB2_8:
	s_or_b32 exec_lo, exec_lo, s10
	s_lshl_b64 s[6:7], s[6:7], 12
	v_dual_mov_b32 v5, 33 :: v_dual_lshlrev_b32 v32, 6, v33
	v_add_co_u32 v3, vcc_lo, v3, s6
	v_add_co_ci_u32_e32 v4, vcc_lo, s7, v4, vcc_lo
	s_mov_b32 s12, 0
	s_delay_alu instid0(VALU_DEP_2)
	v_add_co_u32 v11, vcc_lo, v3, v32
	s_mov_b32 s15, s12
	s_mov_b32 s13, s12
	;; [unrolled: 1-line block ×3, first 2 shown]
	v_dual_mov_b32 v7, v6 :: v_dual_mov_b32 v16, s15
	v_dual_mov_b32 v8, v6 :: v_dual_mov_b32 v15, s14
	v_readfirstlane_b32 s6, v3
	v_readfirstlane_b32 s7, v4
	v_add_co_ci_u32_e32 v12, vcc_lo, 0, v4, vcc_lo
	v_dual_mov_b32 v14, s13 :: v_dual_mov_b32 v13, s12
	s_clause 0x3
	global_store_b128 v32, v[5:8], s[6:7]
	global_store_b128 v32, v[13:16], s[6:7] offset:16
	global_store_b128 v32, v[13:16], s[6:7] offset:32
	;; [unrolled: 1-line block ×3, first 2 shown]
	s_and_saveexec_b32 s1, s0
	s_cbranch_execz .LBB2_16
; %bb.9:
	v_mov_b32_e32 v7, 0
	s_mov_b32 s6, exec_lo
	s_clause 0x1
	global_load_b64 v[15:16], v7, s[2:3] offset:32 glc
	global_load_b64 v[3:4], v7, s[2:3] offset:40
	v_dual_mov_b32 v14, s5 :: v_dual_mov_b32 v13, s4
	s_waitcnt vmcnt(0)
	v_and_b32_e32 v4, s5, v4
	v_and_b32_e32 v3, s4, v3
	s_delay_alu instid0(VALU_DEP_2) | instskip(NEXT) | instid1(VALU_DEP_2)
	v_mul_lo_u32 v4, v4, 24
	v_mul_hi_u32 v5, v3, 24
	v_mul_lo_u32 v3, v3, 24
	s_delay_alu instid0(VALU_DEP_2) | instskip(NEXT) | instid1(VALU_DEP_2)
	v_add_nc_u32_e32 v4, v5, v4
	v_add_co_u32 v5, vcc_lo, v1, v3
	s_delay_alu instid0(VALU_DEP_2)
	v_add_co_ci_u32_e32 v6, vcc_lo, v2, v4, vcc_lo
	global_store_b64 v[5:6], v[15:16], off
	s_waitcnt_vscnt null, 0x0
	global_atomic_cmpswap_b64 v[3:4], v7, v[13:16], s[2:3] offset:32 glc
	s_waitcnt vmcnt(0)
	v_cmpx_ne_u64_e64 v[3:4], v[15:16]
	s_cbranch_execz .LBB2_12
; %bb.10:
	s_mov_b32 s7, 0
.LBB2_11:                               ; =>This Inner Loop Header: Depth=1
	v_dual_mov_b32 v1, s4 :: v_dual_mov_b32 v2, s5
	s_sleep 1
	global_store_b64 v[5:6], v[3:4], off
	s_waitcnt_vscnt null, 0x0
	global_atomic_cmpswap_b64 v[1:2], v7, v[1:4], s[2:3] offset:32 glc
	s_waitcnt vmcnt(0)
	v_cmp_eq_u64_e32 vcc_lo, v[1:2], v[3:4]
	v_dual_mov_b32 v4, v2 :: v_dual_mov_b32 v3, v1
	s_or_b32 s7, vcc_lo, s7
	s_delay_alu instid0(SALU_CYCLE_1)
	s_and_not1_b32 exec_lo, exec_lo, s7
	s_cbranch_execnz .LBB2_11
.LBB2_12:
	s_or_b32 exec_lo, exec_lo, s6
	v_mov_b32_e32 v4, 0
	s_mov_b32 s7, exec_lo
	s_mov_b32 s6, exec_lo
	v_mbcnt_lo_u32_b32 v3, s7, 0
	global_load_b64 v[1:2], v4, s[2:3] offset:16
	v_cmpx_eq_u32_e32 0, v3
	s_cbranch_execz .LBB2_14
; %bb.13:
	s_bcnt1_i32_b32 s7, s7
	s_delay_alu instid0(SALU_CYCLE_1)
	v_mov_b32_e32 v3, s7
	s_waitcnt vmcnt(0)
	global_atomic_add_u64 v[1:2], v[3:4], off offset:8
.LBB2_14:
	s_or_b32 exec_lo, exec_lo, s6
	s_waitcnt vmcnt(0)
	global_load_b64 v[3:4], v[1:2], off offset:16
	s_waitcnt vmcnt(0)
	v_cmp_eq_u64_e32 vcc_lo, 0, v[3:4]
	s_cbranch_vccnz .LBB2_16
; %bb.15:
	global_load_b32 v1, v[1:2], off offset:24
	s_waitcnt vmcnt(0)
	v_dual_mov_b32 v2, 0 :: v_dual_and_b32 v5, 0xffffff, v1
	s_waitcnt_vscnt null, 0x0
	global_store_b64 v[3:4], v[1:2], off
	v_readfirstlane_b32 m0, v5
	s_sendmsg sendmsg(MSG_INTERRUPT)
.LBB2_16:
	s_or_b32 exec_lo, exec_lo, s1
	s_branch .LBB2_20
	.p2align	6
.LBB2_17:                               ;   in Loop: Header=BB2_20 Depth=1
	s_or_b32 exec_lo, exec_lo, s1
	s_delay_alu instid0(VALU_DEP_1) | instskip(NEXT) | instid1(VALU_DEP_1)
	v_readfirstlane_b32 s1, v1
	s_cmp_eq_u32 s1, 0
	s_cbranch_scc1 .LBB2_19
; %bb.18:                               ;   in Loop: Header=BB2_20 Depth=1
	s_sleep 1
	s_cbranch_execnz .LBB2_20
	s_branch .LBB2_22
	.p2align	6
.LBB2_19:
	s_branch .LBB2_22
.LBB2_20:                               ; =>This Inner Loop Header: Depth=1
	v_mov_b32_e32 v1, 1
	s_and_saveexec_b32 s1, s0
	s_cbranch_execz .LBB2_17
; %bb.21:                               ;   in Loop: Header=BB2_20 Depth=1
	global_load_b32 v1, v[9:10], off offset:20 glc
	s_waitcnt vmcnt(0)
	buffer_gl1_inv
	buffer_gl0_inv
	v_and_b32_e32 v1, 1, v1
	s_branch .LBB2_17
.LBB2_22:
	global_load_b64 v[5:6], v[11:12], off
	s_and_saveexec_b32 s1, s0
	s_cbranch_execz .LBB2_26
; %bb.23:
	v_mov_b32_e32 v9, 0
	s_clause 0x2
	global_load_b64 v[3:4], v9, s[2:3] offset:40
	global_load_b64 v[10:11], v9, s[2:3] offset:24 glc
	global_load_b64 v[7:8], v9, s[2:3]
	s_waitcnt vmcnt(2)
	v_add_co_u32 v12, vcc_lo, v3, 1
	v_add_co_ci_u32_e32 v13, vcc_lo, 0, v4, vcc_lo
	s_delay_alu instid0(VALU_DEP_2) | instskip(NEXT) | instid1(VALU_DEP_2)
	v_add_co_u32 v1, vcc_lo, v12, s4
	v_add_co_ci_u32_e32 v2, vcc_lo, s5, v13, vcc_lo
	s_delay_alu instid0(VALU_DEP_1) | instskip(SKIP_1) | instid1(VALU_DEP_1)
	v_cmp_eq_u64_e32 vcc_lo, 0, v[1:2]
	v_dual_cndmask_b32 v2, v2, v13 :: v_dual_cndmask_b32 v1, v1, v12
	v_and_b32_e32 v4, v2, v4
	s_delay_alu instid0(VALU_DEP_2) | instskip(NEXT) | instid1(VALU_DEP_2)
	v_and_b32_e32 v3, v1, v3
	v_mul_lo_u32 v4, v4, 24
	s_delay_alu instid0(VALU_DEP_2) | instskip(SKIP_1) | instid1(VALU_DEP_2)
	v_mul_hi_u32 v12, v3, 24
	v_mul_lo_u32 v3, v3, 24
	v_add_nc_u32_e32 v4, v12, v4
	s_waitcnt vmcnt(0)
	s_delay_alu instid0(VALU_DEP_2) | instskip(SKIP_1) | instid1(VALU_DEP_3)
	v_add_co_u32 v7, vcc_lo, v7, v3
	v_mov_b32_e32 v3, v10
	v_add_co_ci_u32_e32 v8, vcc_lo, v8, v4, vcc_lo
	v_mov_b32_e32 v4, v11
	global_store_b64 v[7:8], v[10:11], off
	s_waitcnt_vscnt null, 0x0
	global_atomic_cmpswap_b64 v[3:4], v9, v[1:4], s[2:3] offset:24 glc
	s_waitcnt vmcnt(0)
	v_cmp_ne_u64_e32 vcc_lo, v[3:4], v[10:11]
	s_and_b32 exec_lo, exec_lo, vcc_lo
	s_cbranch_execz .LBB2_26
; %bb.24:
	s_mov_b32 s0, 0
.LBB2_25:                               ; =>This Inner Loop Header: Depth=1
	s_sleep 1
	global_store_b64 v[7:8], v[3:4], off
	s_waitcnt_vscnt null, 0x0
	global_atomic_cmpswap_b64 v[10:11], v9, v[1:4], s[2:3] offset:24 glc
	s_waitcnt vmcnt(0)
	v_cmp_eq_u64_e32 vcc_lo, v[10:11], v[3:4]
	v_dual_mov_b32 v3, v10 :: v_dual_mov_b32 v4, v11
	s_or_b32 s0, vcc_lo, s0
	s_delay_alu instid0(SALU_CYCLE_1)
	s_and_not1_b32 exec_lo, exec_lo, s0
	s_cbranch_execnz .LBB2_25
.LBB2_26:
	s_or_b32 exec_lo, exec_lo, s1
	s_getpc_b64 s[4:5]
	s_add_u32 s4, s4, .str.2@rel32@lo+4
	s_addc_u32 s5, s5, .str.2@rel32@hi+12
	s_delay_alu instid0(SALU_CYCLE_1)
	s_cmp_lg_u64 s[4:5], 0
	s_cbranch_scc0 .LBB2_104
; %bb.27:
	s_waitcnt vmcnt(0)
	v_dual_mov_b32 v8, 0 :: v_dual_and_b32 v29, 2, v5
	v_dual_mov_b32 v2, v6 :: v_dual_and_b32 v1, -3, v5
	v_dual_mov_b32 v9, 2 :: v_dual_mov_b32 v10, 1
	s_mov_b64 s[6:7], 0x4d
	s_branch .LBB2_29
.LBB2_28:                               ;   in Loop: Header=BB2_29 Depth=1
	s_or_b32 exec_lo, exec_lo, s1
	s_sub_u32 s6, s6, s10
	s_subb_u32 s7, s7, s11
	s_add_u32 s4, s4, s10
	s_addc_u32 s5, s5, s11
	s_cmp_lg_u64 s[6:7], 0
	s_cbranch_scc0 .LBB2_105
.LBB2_29:                               ; =>This Loop Header: Depth=1
                                        ;     Child Loop BB2_38 Depth 2
                                        ;     Child Loop BB2_34 Depth 2
	;; [unrolled: 1-line block ×11, first 2 shown]
	v_cmp_lt_u64_e64 s0, s[6:7], 56
	v_cmp_gt_u64_e64 s1, s[6:7], 7
                                        ; implicit-def: $vgpr3_vgpr4
                                        ; implicit-def: $sgpr16
	s_delay_alu instid0(VALU_DEP_2) | instskip(SKIP_2) | instid1(VALU_DEP_1)
	s_and_b32 s0, s0, exec_lo
	s_cselect_b32 s11, s7, 0
	s_cselect_b32 s10, s6, 56
	s_and_b32 vcc_lo, exec_lo, s1
	s_mov_b32 s0, -1
	s_cbranch_vccz .LBB2_36
; %bb.30:                               ;   in Loop: Header=BB2_29 Depth=1
	s_and_not1_b32 vcc_lo, exec_lo, s0
	s_mov_b64 s[0:1], s[4:5]
	s_cbranch_vccz .LBB2_40
.LBB2_31:                               ;   in Loop: Header=BB2_29 Depth=1
	s_cmp_gt_u32 s16, 7
	s_cbranch_scc1 .LBB2_41
.LBB2_32:                               ;   in Loop: Header=BB2_29 Depth=1
	v_mov_b32_e32 v11, 0
	v_mov_b32_e32 v12, 0
	s_cmp_eq_u32 s16, 0
	s_cbranch_scc1 .LBB2_35
; %bb.33:                               ;   in Loop: Header=BB2_29 Depth=1
	s_mov_b64 s[12:13], 0
	s_mov_b64 s[14:15], 0
.LBB2_34:                               ;   Parent Loop BB2_29 Depth=1
                                        ; =>  This Inner Loop Header: Depth=2
	s_delay_alu instid0(SALU_CYCLE_1)
	s_add_u32 s18, s0, s14
	s_addc_u32 s19, s1, s15
	s_add_u32 s14, s14, 1
	global_load_u8 v7, v8, s[18:19]
	s_addc_u32 s15, s15, 0
	s_waitcnt vmcnt(0)
	v_and_b32_e32 v7, 0xffff, v7
	s_delay_alu instid0(VALU_DEP_1) | instskip(SKIP_3) | instid1(VALU_DEP_1)
	v_lshlrev_b64 v[13:14], s12, v[7:8]
	s_add_u32 s12, s12, 8
	s_addc_u32 s13, s13, 0
	s_cmp_lg_u32 s16, s14
	v_or_b32_e32 v11, v13, v11
	s_delay_alu instid0(VALU_DEP_2)
	v_or_b32_e32 v12, v14, v12
	s_cbranch_scc1 .LBB2_34
.LBB2_35:                               ;   in Loop: Header=BB2_29 Depth=1
	s_mov_b32 s17, 0
	s_cbranch_execz .LBB2_42
	s_branch .LBB2_43
.LBB2_36:                               ;   in Loop: Header=BB2_29 Depth=1
	s_waitcnt vmcnt(0)
	v_mov_b32_e32 v3, 0
	v_mov_b32_e32 v4, 0
	s_cmp_eq_u64 s[6:7], 0
	s_mov_b64 s[0:1], 0
	s_cbranch_scc1 .LBB2_39
; %bb.37:                               ;   in Loop: Header=BB2_29 Depth=1
	v_mov_b32_e32 v3, 0
	v_mov_b32_e32 v4, 0
	s_lshl_b64 s[12:13], s[10:11], 3
	s_mov_b64 s[14:15], s[4:5]
.LBB2_38:                               ;   Parent Loop BB2_29 Depth=1
                                        ; =>  This Inner Loop Header: Depth=2
	global_load_u8 v7, v8, s[14:15]
	s_waitcnt vmcnt(0)
	v_and_b32_e32 v7, 0xffff, v7
	s_delay_alu instid0(VALU_DEP_1)
	v_lshlrev_b64 v[11:12], s0, v[7:8]
	s_add_u32 s0, s0, 8
	s_addc_u32 s1, s1, 0
	s_add_u32 s14, s14, 1
	s_addc_u32 s15, s15, 0
	s_cmp_lg_u32 s12, s0
	v_or_b32_e32 v3, v11, v3
	v_or_b32_e32 v4, v12, v4
	s_cbranch_scc1 .LBB2_38
.LBB2_39:                               ;   in Loop: Header=BB2_29 Depth=1
	s_mov_b32 s16, 0
	s_mov_b64 s[0:1], s[4:5]
	s_cbranch_execnz .LBB2_31
.LBB2_40:                               ;   in Loop: Header=BB2_29 Depth=1
	global_load_b64 v[3:4], v8, s[4:5]
	s_add_i32 s16, s10, -8
	s_add_u32 s0, s4, 8
	s_addc_u32 s1, s5, 0
	s_cmp_gt_u32 s16, 7
	s_cbranch_scc0 .LBB2_32
.LBB2_41:                               ;   in Loop: Header=BB2_29 Depth=1
                                        ; implicit-def: $vgpr11_vgpr12
                                        ; implicit-def: $sgpr17
.LBB2_42:                               ;   in Loop: Header=BB2_29 Depth=1
	global_load_b64 v[11:12], v8, s[0:1]
	s_add_i32 s17, s16, -8
	s_add_u32 s0, s0, 8
	s_addc_u32 s1, s1, 0
.LBB2_43:                               ;   in Loop: Header=BB2_29 Depth=1
	s_cmp_gt_u32 s17, 7
	s_cbranch_scc1 .LBB2_48
; %bb.44:                               ;   in Loop: Header=BB2_29 Depth=1
	v_mov_b32_e32 v13, 0
	v_mov_b32_e32 v14, 0
	s_cmp_eq_u32 s17, 0
	s_cbranch_scc1 .LBB2_47
; %bb.45:                               ;   in Loop: Header=BB2_29 Depth=1
	s_mov_b64 s[12:13], 0
	s_mov_b64 s[14:15], 0
.LBB2_46:                               ;   Parent Loop BB2_29 Depth=1
                                        ; =>  This Inner Loop Header: Depth=2
	s_delay_alu instid0(SALU_CYCLE_1)
	s_add_u32 s18, s0, s14
	s_addc_u32 s19, s1, s15
	s_add_u32 s14, s14, 1
	global_load_u8 v7, v8, s[18:19]
	s_addc_u32 s15, s15, 0
	s_waitcnt vmcnt(0)
	v_and_b32_e32 v7, 0xffff, v7
	s_delay_alu instid0(VALU_DEP_1) | instskip(SKIP_3) | instid1(VALU_DEP_1)
	v_lshlrev_b64 v[15:16], s12, v[7:8]
	s_add_u32 s12, s12, 8
	s_addc_u32 s13, s13, 0
	s_cmp_lg_u32 s17, s14
	v_or_b32_e32 v13, v15, v13
	s_delay_alu instid0(VALU_DEP_2)
	v_or_b32_e32 v14, v16, v14
	s_cbranch_scc1 .LBB2_46
.LBB2_47:                               ;   in Loop: Header=BB2_29 Depth=1
	s_mov_b32 s16, 0
	s_cbranch_execz .LBB2_49
	s_branch .LBB2_50
.LBB2_48:                               ;   in Loop: Header=BB2_29 Depth=1
                                        ; implicit-def: $sgpr16
.LBB2_49:                               ;   in Loop: Header=BB2_29 Depth=1
	global_load_b64 v[13:14], v8, s[0:1]
	s_add_i32 s16, s17, -8
	s_add_u32 s0, s0, 8
	s_addc_u32 s1, s1, 0
.LBB2_50:                               ;   in Loop: Header=BB2_29 Depth=1
	s_cmp_gt_u32 s16, 7
	s_cbranch_scc1 .LBB2_55
; %bb.51:                               ;   in Loop: Header=BB2_29 Depth=1
	v_mov_b32_e32 v15, 0
	v_mov_b32_e32 v16, 0
	s_cmp_eq_u32 s16, 0
	s_cbranch_scc1 .LBB2_54
; %bb.52:                               ;   in Loop: Header=BB2_29 Depth=1
	s_mov_b64 s[12:13], 0
	s_mov_b64 s[14:15], 0
.LBB2_53:                               ;   Parent Loop BB2_29 Depth=1
                                        ; =>  This Inner Loop Header: Depth=2
	s_delay_alu instid0(SALU_CYCLE_1)
	s_add_u32 s18, s0, s14
	s_addc_u32 s19, s1, s15
	s_add_u32 s14, s14, 1
	global_load_u8 v7, v8, s[18:19]
	s_addc_u32 s15, s15, 0
	s_waitcnt vmcnt(0)
	v_and_b32_e32 v7, 0xffff, v7
	s_delay_alu instid0(VALU_DEP_1) | instskip(SKIP_3) | instid1(VALU_DEP_1)
	v_lshlrev_b64 v[17:18], s12, v[7:8]
	s_add_u32 s12, s12, 8
	s_addc_u32 s13, s13, 0
	s_cmp_lg_u32 s16, s14
	v_or_b32_e32 v15, v17, v15
	s_delay_alu instid0(VALU_DEP_2)
	v_or_b32_e32 v16, v18, v16
	s_cbranch_scc1 .LBB2_53
.LBB2_54:                               ;   in Loop: Header=BB2_29 Depth=1
	s_mov_b32 s17, 0
	s_cbranch_execz .LBB2_56
	s_branch .LBB2_57
.LBB2_55:                               ;   in Loop: Header=BB2_29 Depth=1
                                        ; implicit-def: $vgpr15_vgpr16
                                        ; implicit-def: $sgpr17
.LBB2_56:                               ;   in Loop: Header=BB2_29 Depth=1
	global_load_b64 v[15:16], v8, s[0:1]
	s_add_i32 s17, s16, -8
	s_add_u32 s0, s0, 8
	s_addc_u32 s1, s1, 0
.LBB2_57:                               ;   in Loop: Header=BB2_29 Depth=1
	s_cmp_gt_u32 s17, 7
	s_cbranch_scc1 .LBB2_62
; %bb.58:                               ;   in Loop: Header=BB2_29 Depth=1
	v_mov_b32_e32 v17, 0
	v_mov_b32_e32 v18, 0
	s_cmp_eq_u32 s17, 0
	s_cbranch_scc1 .LBB2_61
; %bb.59:                               ;   in Loop: Header=BB2_29 Depth=1
	s_mov_b64 s[12:13], 0
	s_mov_b64 s[14:15], 0
.LBB2_60:                               ;   Parent Loop BB2_29 Depth=1
                                        ; =>  This Inner Loop Header: Depth=2
	s_delay_alu instid0(SALU_CYCLE_1)
	s_add_u32 s18, s0, s14
	s_addc_u32 s19, s1, s15
	s_add_u32 s14, s14, 1
	global_load_u8 v7, v8, s[18:19]
	s_addc_u32 s15, s15, 0
	s_waitcnt vmcnt(0)
	v_and_b32_e32 v7, 0xffff, v7
	s_delay_alu instid0(VALU_DEP_1) | instskip(SKIP_3) | instid1(VALU_DEP_1)
	v_lshlrev_b64 v[19:20], s12, v[7:8]
	s_add_u32 s12, s12, 8
	s_addc_u32 s13, s13, 0
	s_cmp_lg_u32 s17, s14
	v_or_b32_e32 v17, v19, v17
	s_delay_alu instid0(VALU_DEP_2)
	v_or_b32_e32 v18, v20, v18
	s_cbranch_scc1 .LBB2_60
.LBB2_61:                               ;   in Loop: Header=BB2_29 Depth=1
	s_mov_b32 s16, 0
	s_cbranch_execz .LBB2_63
	s_branch .LBB2_64
.LBB2_62:                               ;   in Loop: Header=BB2_29 Depth=1
                                        ; implicit-def: $sgpr16
.LBB2_63:                               ;   in Loop: Header=BB2_29 Depth=1
	global_load_b64 v[17:18], v8, s[0:1]
	s_add_i32 s16, s17, -8
	s_add_u32 s0, s0, 8
	s_addc_u32 s1, s1, 0
.LBB2_64:                               ;   in Loop: Header=BB2_29 Depth=1
	s_cmp_gt_u32 s16, 7
	s_cbranch_scc1 .LBB2_69
; %bb.65:                               ;   in Loop: Header=BB2_29 Depth=1
	v_mov_b32_e32 v19, 0
	v_mov_b32_e32 v20, 0
	s_cmp_eq_u32 s16, 0
	s_cbranch_scc1 .LBB2_68
; %bb.66:                               ;   in Loop: Header=BB2_29 Depth=1
	s_mov_b64 s[12:13], 0
	s_mov_b64 s[14:15], 0
.LBB2_67:                               ;   Parent Loop BB2_29 Depth=1
                                        ; =>  This Inner Loop Header: Depth=2
	s_delay_alu instid0(SALU_CYCLE_1)
	s_add_u32 s18, s0, s14
	s_addc_u32 s19, s1, s15
	s_add_u32 s14, s14, 1
	global_load_u8 v7, v8, s[18:19]
	s_addc_u32 s15, s15, 0
	s_waitcnt vmcnt(0)
	v_and_b32_e32 v7, 0xffff, v7
	s_delay_alu instid0(VALU_DEP_1) | instskip(SKIP_3) | instid1(VALU_DEP_1)
	v_lshlrev_b64 v[21:22], s12, v[7:8]
	s_add_u32 s12, s12, 8
	s_addc_u32 s13, s13, 0
	s_cmp_lg_u32 s16, s14
	v_or_b32_e32 v19, v21, v19
	s_delay_alu instid0(VALU_DEP_2)
	v_or_b32_e32 v20, v22, v20
	s_cbranch_scc1 .LBB2_67
.LBB2_68:                               ;   in Loop: Header=BB2_29 Depth=1
	s_mov_b32 s17, 0
	s_cbranch_execz .LBB2_70
	s_branch .LBB2_71
.LBB2_69:                               ;   in Loop: Header=BB2_29 Depth=1
                                        ; implicit-def: $vgpr19_vgpr20
                                        ; implicit-def: $sgpr17
.LBB2_70:                               ;   in Loop: Header=BB2_29 Depth=1
	global_load_b64 v[19:20], v8, s[0:1]
	s_add_i32 s17, s16, -8
	s_add_u32 s0, s0, 8
	s_addc_u32 s1, s1, 0
.LBB2_71:                               ;   in Loop: Header=BB2_29 Depth=1
	s_cmp_gt_u32 s17, 7
	s_cbranch_scc1 .LBB2_76
; %bb.72:                               ;   in Loop: Header=BB2_29 Depth=1
	v_mov_b32_e32 v21, 0
	v_mov_b32_e32 v22, 0
	s_cmp_eq_u32 s17, 0
	s_cbranch_scc1 .LBB2_75
; %bb.73:                               ;   in Loop: Header=BB2_29 Depth=1
	s_mov_b64 s[12:13], 0
	s_mov_b64 s[14:15], s[0:1]
.LBB2_74:                               ;   Parent Loop BB2_29 Depth=1
                                        ; =>  This Inner Loop Header: Depth=2
	global_load_u8 v7, v8, s[14:15]
	s_add_i32 s17, s17, -1
	s_waitcnt vmcnt(0)
	v_and_b32_e32 v7, 0xffff, v7
	s_delay_alu instid0(VALU_DEP_1)
	v_lshlrev_b64 v[23:24], s12, v[7:8]
	s_add_u32 s12, s12, 8
	s_addc_u32 s13, s13, 0
	s_add_u32 s14, s14, 1
	s_addc_u32 s15, s15, 0
	s_cmp_lg_u32 s17, 0
	v_or_b32_e32 v21, v23, v21
	v_or_b32_e32 v22, v24, v22
	s_cbranch_scc1 .LBB2_74
.LBB2_75:                               ;   in Loop: Header=BB2_29 Depth=1
	s_cbranch_execz .LBB2_77
	s_branch .LBB2_78
.LBB2_76:                               ;   in Loop: Header=BB2_29 Depth=1
.LBB2_77:                               ;   in Loop: Header=BB2_29 Depth=1
	global_load_b64 v[21:22], v8, s[0:1]
.LBB2_78:                               ;   in Loop: Header=BB2_29 Depth=1
	v_readfirstlane_b32 s0, v33
	v_mov_b32_e32 v27, 0
	v_mov_b32_e32 v28, 0
	s_delay_alu instid0(VALU_DEP_3) | instskip(NEXT) | instid1(VALU_DEP_1)
	v_cmp_eq_u32_e64 s0, s0, v33
	s_and_saveexec_b32 s1, s0
	s_cbranch_execz .LBB2_84
; %bb.79:                               ;   in Loop: Header=BB2_29 Depth=1
	global_load_b64 v[25:26], v8, s[2:3] offset:24 glc
	s_waitcnt vmcnt(0)
	buffer_gl1_inv
	buffer_gl0_inv
	s_clause 0x1
	global_load_b64 v[23:24], v8, s[2:3] offset:40
	global_load_b64 v[27:28], v8, s[2:3]
	s_mov_b32 s12, exec_lo
	s_waitcnt vmcnt(1)
	v_and_b32_e32 v7, v24, v26
	v_and_b32_e32 v23, v23, v25
	s_delay_alu instid0(VALU_DEP_2) | instskip(NEXT) | instid1(VALU_DEP_2)
	v_mul_lo_u32 v7, v7, 24
	v_mul_hi_u32 v24, v23, 24
	v_mul_lo_u32 v23, v23, 24
	s_delay_alu instid0(VALU_DEP_2) | instskip(SKIP_1) | instid1(VALU_DEP_2)
	v_add_nc_u32_e32 v7, v24, v7
	s_waitcnt vmcnt(0)
	v_add_co_u32 v23, vcc_lo, v27, v23
	s_delay_alu instid0(VALU_DEP_2)
	v_add_co_ci_u32_e32 v24, vcc_lo, v28, v7, vcc_lo
	global_load_b64 v[23:24], v[23:24], off glc
	s_waitcnt vmcnt(0)
	global_atomic_cmpswap_b64 v[27:28], v8, v[23:26], s[2:3] offset:24 glc
	s_waitcnt vmcnt(0)
	buffer_gl1_inv
	buffer_gl0_inv
	v_cmpx_ne_u64_e64 v[27:28], v[25:26]
	s_cbranch_execz .LBB2_83
; %bb.80:                               ;   in Loop: Header=BB2_29 Depth=1
	s_mov_b32 s13, 0
	.p2align	6
.LBB2_81:                               ;   Parent Loop BB2_29 Depth=1
                                        ; =>  This Inner Loop Header: Depth=2
	s_sleep 1
	s_clause 0x1
	global_load_b64 v[23:24], v8, s[2:3] offset:40
	global_load_b64 v[30:31], v8, s[2:3]
	v_dual_mov_b32 v25, v27 :: v_dual_mov_b32 v26, v28
	s_waitcnt vmcnt(1)
	s_delay_alu instid0(VALU_DEP_1) | instskip(SKIP_1) | instid1(VALU_DEP_1)
	v_and_b32_e32 v7, v23, v25
	s_waitcnt vmcnt(0)
	v_mad_u64_u32 v[27:28], null, v7, 24, v[30:31]
	v_and_b32_e32 v30, v24, v26
	s_delay_alu instid0(VALU_DEP_2) | instskip(NEXT) | instid1(VALU_DEP_1)
	v_mov_b32_e32 v7, v28
	v_mad_u64_u32 v[23:24], null, v30, 24, v[7:8]
	s_delay_alu instid0(VALU_DEP_1)
	v_mov_b32_e32 v28, v23
	global_load_b64 v[23:24], v[27:28], off glc
	s_waitcnt vmcnt(0)
	global_atomic_cmpswap_b64 v[27:28], v8, v[23:26], s[2:3] offset:24 glc
	s_waitcnt vmcnt(0)
	buffer_gl1_inv
	buffer_gl0_inv
	v_cmp_eq_u64_e32 vcc_lo, v[27:28], v[25:26]
	s_or_b32 s13, vcc_lo, s13
	s_delay_alu instid0(SALU_CYCLE_1)
	s_and_not1_b32 exec_lo, exec_lo, s13
	s_cbranch_execnz .LBB2_81
; %bb.82:                               ;   in Loop: Header=BB2_29 Depth=1
	s_or_b32 exec_lo, exec_lo, s13
.LBB2_83:                               ;   in Loop: Header=BB2_29 Depth=1
	s_delay_alu instid0(SALU_CYCLE_1)
	s_or_b32 exec_lo, exec_lo, s12
.LBB2_84:                               ;   in Loop: Header=BB2_29 Depth=1
	s_delay_alu instid0(SALU_CYCLE_1)
	s_or_b32 exec_lo, exec_lo, s1
	s_clause 0x1
	global_load_b64 v[30:31], v8, s[2:3] offset:40
	global_load_b128 v[23:26], v8, s[2:3]
	v_readfirstlane_b32 s12, v27
	v_readfirstlane_b32 s13, v28
	s_mov_b32 s1, exec_lo
	s_waitcnt vmcnt(1)
	v_readfirstlane_b32 s14, v30
	v_readfirstlane_b32 s15, v31
	s_delay_alu instid0(VALU_DEP_1) | instskip(NEXT) | instid1(SALU_CYCLE_1)
	s_and_b64 s[14:15], s[12:13], s[14:15]
	s_mul_i32 s16, s15, 24
	s_mul_hi_u32 s17, s14, 24
	s_mul_i32 s18, s14, 24
	s_add_i32 s17, s17, s16
	s_waitcnt vmcnt(0)
	v_add_co_u32 v27, vcc_lo, v23, s18
	v_add_co_ci_u32_e32 v28, vcc_lo, s17, v24, vcc_lo
	s_and_saveexec_b32 s16, s0
	s_cbranch_execz .LBB2_86
; %bb.85:                               ;   in Loop: Header=BB2_29 Depth=1
	v_mov_b32_e32 v7, s1
	global_store_b128 v[27:28], v[7:10], off offset:8
.LBB2_86:                               ;   in Loop: Header=BB2_29 Depth=1
	s_or_b32 exec_lo, exec_lo, s16
	s_lshl_b64 s[14:15], s[14:15], 12
	v_cmp_gt_u64_e64 vcc_lo, s[6:7], 56
	v_or_b32_e32 v7, 0, v2
	v_or_b32_e32 v30, v1, v29
	v_add_co_u32 v25, s1, v25, s14
	s_delay_alu instid0(VALU_DEP_1) | instskip(SKIP_1) | instid1(VALU_DEP_3)
	v_add_co_ci_u32_e64 v26, s1, s15, v26, s1
	s_lshl_b32 s1, s10, 2
	v_dual_cndmask_b32 v2, v7, v2 :: v_dual_cndmask_b32 v1, v30, v1
	s_add_i32 s1, s1, 28
	v_readfirstlane_b32 s14, v25
	s_and_b32 s1, s1, 0x1e0
	v_readfirstlane_b32 s15, v26
	v_and_or_b32 v1, 0xffffff1f, v1, s1
	s_clause 0x3
	global_store_b128 v32, v[1:4], s[14:15]
	global_store_b128 v32, v[11:14], s[14:15] offset:16
	global_store_b128 v32, v[15:18], s[14:15] offset:32
	;; [unrolled: 1-line block ×3, first 2 shown]
	s_and_saveexec_b32 s1, s0
	s_cbranch_execz .LBB2_94
; %bb.87:                               ;   in Loop: Header=BB2_29 Depth=1
	s_clause 0x1
	global_load_b64 v[15:16], v8, s[2:3] offset:32 glc
	global_load_b64 v[1:2], v8, s[2:3] offset:40
	v_dual_mov_b32 v13, s12 :: v_dual_mov_b32 v14, s13
	s_waitcnt vmcnt(0)
	v_readfirstlane_b32 s14, v1
	v_readfirstlane_b32 s15, v2
	s_delay_alu instid0(VALU_DEP_1) | instskip(NEXT) | instid1(SALU_CYCLE_1)
	s_and_b64 s[14:15], s[14:15], s[12:13]
	s_mul_i32 s15, s15, 24
	s_mul_hi_u32 s16, s14, 24
	s_mul_i32 s14, s14, 24
	s_add_i32 s16, s16, s15
	v_add_co_u32 v11, vcc_lo, v23, s14
	v_add_co_ci_u32_e32 v12, vcc_lo, s16, v24, vcc_lo
	s_mov_b32 s14, exec_lo
	global_store_b64 v[11:12], v[15:16], off
	s_waitcnt_vscnt null, 0x0
	global_atomic_cmpswap_b64 v[3:4], v8, v[13:16], s[2:3] offset:32 glc
	s_waitcnt vmcnt(0)
	v_cmpx_ne_u64_e64 v[3:4], v[15:16]
	s_cbranch_execz .LBB2_90
; %bb.88:                               ;   in Loop: Header=BB2_29 Depth=1
	s_mov_b32 s15, 0
.LBB2_89:                               ;   Parent Loop BB2_29 Depth=1
                                        ; =>  This Inner Loop Header: Depth=2
	v_dual_mov_b32 v1, s12 :: v_dual_mov_b32 v2, s13
	s_sleep 1
	global_store_b64 v[11:12], v[3:4], off
	s_waitcnt_vscnt null, 0x0
	global_atomic_cmpswap_b64 v[1:2], v8, v[1:4], s[2:3] offset:32 glc
	s_waitcnt vmcnt(0)
	v_cmp_eq_u64_e32 vcc_lo, v[1:2], v[3:4]
	v_dual_mov_b32 v4, v2 :: v_dual_mov_b32 v3, v1
	s_or_b32 s15, vcc_lo, s15
	s_delay_alu instid0(SALU_CYCLE_1)
	s_and_not1_b32 exec_lo, exec_lo, s15
	s_cbranch_execnz .LBB2_89
.LBB2_90:                               ;   in Loop: Header=BB2_29 Depth=1
	s_or_b32 exec_lo, exec_lo, s14
	global_load_b64 v[1:2], v8, s[2:3] offset:16
	s_mov_b32 s15, exec_lo
	s_mov_b32 s14, exec_lo
	v_mbcnt_lo_u32_b32 v3, s15, 0
	s_delay_alu instid0(VALU_DEP_1)
	v_cmpx_eq_u32_e32 0, v3
	s_cbranch_execz .LBB2_92
; %bb.91:                               ;   in Loop: Header=BB2_29 Depth=1
	s_bcnt1_i32_b32 s15, s15
	s_delay_alu instid0(SALU_CYCLE_1)
	v_mov_b32_e32 v7, s15
	s_waitcnt vmcnt(0)
	global_atomic_add_u64 v[1:2], v[7:8], off offset:8
.LBB2_92:                               ;   in Loop: Header=BB2_29 Depth=1
	s_or_b32 exec_lo, exec_lo, s14
	s_waitcnt vmcnt(0)
	global_load_b64 v[3:4], v[1:2], off offset:16
	s_waitcnt vmcnt(0)
	v_cmp_eq_u64_e32 vcc_lo, 0, v[3:4]
	s_cbranch_vccnz .LBB2_94
; %bb.93:                               ;   in Loop: Header=BB2_29 Depth=1
	global_load_b32 v7, v[1:2], off offset:24
	s_waitcnt vmcnt(0)
	v_and_b32_e32 v1, 0xffffff, v7
	s_waitcnt_vscnt null, 0x0
	global_store_b64 v[3:4], v[7:8], off
	v_readfirstlane_b32 m0, v1
	s_sendmsg sendmsg(MSG_INTERRUPT)
.LBB2_94:                               ;   in Loop: Header=BB2_29 Depth=1
	s_or_b32 exec_lo, exec_lo, s1
	v_add_co_u32 v1, vcc_lo, v25, v32
	v_add_co_ci_u32_e32 v2, vcc_lo, 0, v26, vcc_lo
	s_branch .LBB2_98
	.p2align	6
.LBB2_95:                               ;   in Loop: Header=BB2_98 Depth=2
	s_or_b32 exec_lo, exec_lo, s1
	s_delay_alu instid0(VALU_DEP_1) | instskip(NEXT) | instid1(VALU_DEP_1)
	v_readfirstlane_b32 s1, v3
	s_cmp_eq_u32 s1, 0
	s_cbranch_scc1 .LBB2_97
; %bb.96:                               ;   in Loop: Header=BB2_98 Depth=2
	s_sleep 1
	s_cbranch_execnz .LBB2_98
	s_branch .LBB2_100
	.p2align	6
.LBB2_97:                               ;   in Loop: Header=BB2_29 Depth=1
	s_branch .LBB2_100
.LBB2_98:                               ;   Parent Loop BB2_29 Depth=1
                                        ; =>  This Inner Loop Header: Depth=2
	v_mov_b32_e32 v3, 1
	s_and_saveexec_b32 s1, s0
	s_cbranch_execz .LBB2_95
; %bb.99:                               ;   in Loop: Header=BB2_98 Depth=2
	global_load_b32 v3, v[27:28], off offset:20 glc
	s_waitcnt vmcnt(0)
	buffer_gl1_inv
	buffer_gl0_inv
	v_and_b32_e32 v3, 1, v3
	s_branch .LBB2_95
.LBB2_100:                              ;   in Loop: Header=BB2_29 Depth=1
	global_load_b128 v[1:4], v[1:2], off
	s_and_saveexec_b32 s1, s0
	s_cbranch_execz .LBB2_28
; %bb.101:                              ;   in Loop: Header=BB2_29 Depth=1
	s_clause 0x2
	global_load_b64 v[3:4], v8, s[2:3] offset:40
	global_load_b64 v[15:16], v8, s[2:3] offset:24 glc
	global_load_b64 v[13:14], v8, s[2:3]
	s_waitcnt vmcnt(2)
	v_add_co_u32 v7, vcc_lo, v3, 1
	v_add_co_ci_u32_e32 v17, vcc_lo, 0, v4, vcc_lo
	s_delay_alu instid0(VALU_DEP_2) | instskip(NEXT) | instid1(VALU_DEP_2)
	v_add_co_u32 v11, vcc_lo, v7, s12
	v_add_co_ci_u32_e32 v12, vcc_lo, s13, v17, vcc_lo
	s_delay_alu instid0(VALU_DEP_1) | instskip(SKIP_1) | instid1(VALU_DEP_1)
	v_cmp_eq_u64_e32 vcc_lo, 0, v[11:12]
	v_dual_cndmask_b32 v12, v12, v17 :: v_dual_cndmask_b32 v11, v11, v7
	v_and_b32_e32 v4, v12, v4
	s_delay_alu instid0(VALU_DEP_2) | instskip(NEXT) | instid1(VALU_DEP_1)
	v_and_b32_e32 v3, v11, v3
	v_mul_hi_u32 v7, v3, 24
	v_mul_lo_u32 v3, v3, 24
	s_waitcnt vmcnt(0)
	s_delay_alu instid0(VALU_DEP_1) | instskip(SKIP_2) | instid1(VALU_DEP_1)
	v_add_co_u32 v3, vcc_lo, v13, v3
	v_mov_b32_e32 v13, v15
	v_mul_lo_u32 v4, v4, 24
	v_add_nc_u32_e32 v4, v7, v4
	s_delay_alu instid0(VALU_DEP_1)
	v_add_co_ci_u32_e32 v4, vcc_lo, v14, v4, vcc_lo
	v_mov_b32_e32 v14, v16
	global_store_b64 v[3:4], v[15:16], off
	s_waitcnt_vscnt null, 0x0
	global_atomic_cmpswap_b64 v[13:14], v8, v[11:14], s[2:3] offset:24 glc
	s_waitcnt vmcnt(0)
	v_cmp_ne_u64_e32 vcc_lo, v[13:14], v[15:16]
	s_and_b32 exec_lo, exec_lo, vcc_lo
	s_cbranch_execz .LBB2_28
; %bb.102:                              ;   in Loop: Header=BB2_29 Depth=1
	s_mov_b32 s0, 0
.LBB2_103:                              ;   Parent Loop BB2_29 Depth=1
                                        ; =>  This Inner Loop Header: Depth=2
	s_sleep 1
	global_store_b64 v[3:4], v[13:14], off
	s_waitcnt_vscnt null, 0x0
	global_atomic_cmpswap_b64 v[15:16], v8, v[11:14], s[2:3] offset:24 glc
	s_waitcnt vmcnt(0)
	v_cmp_eq_u64_e32 vcc_lo, v[15:16], v[13:14]
	v_dual_mov_b32 v13, v15 :: v_dual_mov_b32 v14, v16
	s_or_b32 s0, vcc_lo, s0
	s_delay_alu instid0(SALU_CYCLE_1)
	s_and_not1_b32 exec_lo, exec_lo, s0
	s_cbranch_execnz .LBB2_103
	s_branch .LBB2_28
.LBB2_104:
                                        ; implicit-def: $vgpr1_vgpr2
	s_cbranch_execnz .LBB2_106
	s_branch .LBB2_133
.LBB2_105:
	s_branch .LBB2_133
.LBB2_106:
	v_readfirstlane_b32 s0, v33
	v_mov_b32_e32 v8, 0
	v_mov_b32_e32 v9, 0
	s_delay_alu instid0(VALU_DEP_3) | instskip(NEXT) | instid1(VALU_DEP_1)
	v_cmp_eq_u32_e64 s0, s0, v33
	s_and_saveexec_b32 s1, s0
	s_cbranch_execz .LBB2_112
; %bb.107:
	s_waitcnt vmcnt(0)
	v_mov_b32_e32 v1, 0
	s_mov_b32 s4, exec_lo
	global_load_b64 v[10:11], v1, s[2:3] offset:24 glc
	s_waitcnt vmcnt(0)
	buffer_gl1_inv
	buffer_gl0_inv
	s_clause 0x1
	global_load_b64 v[2:3], v1, s[2:3] offset:40
	global_load_b64 v[7:8], v1, s[2:3]
	s_waitcnt vmcnt(1)
	v_and_b32_e32 v2, v2, v10
	v_and_b32_e32 v3, v3, v11
	s_delay_alu instid0(VALU_DEP_2) | instskip(NEXT) | instid1(VALU_DEP_2)
	v_mul_hi_u32 v4, v2, 24
	v_mul_lo_u32 v3, v3, 24
	v_mul_lo_u32 v2, v2, 24
	s_delay_alu instid0(VALU_DEP_2) | instskip(SKIP_1) | instid1(VALU_DEP_2)
	v_add_nc_u32_e32 v3, v4, v3
	s_waitcnt vmcnt(0)
	v_add_co_u32 v2, vcc_lo, v7, v2
	s_delay_alu instid0(VALU_DEP_2)
	v_add_co_ci_u32_e32 v3, vcc_lo, v8, v3, vcc_lo
	global_load_b64 v[8:9], v[2:3], off glc
	s_waitcnt vmcnt(0)
	global_atomic_cmpswap_b64 v[8:9], v1, v[8:11], s[2:3] offset:24 glc
	s_waitcnt vmcnt(0)
	buffer_gl1_inv
	buffer_gl0_inv
	v_cmpx_ne_u64_e64 v[8:9], v[10:11]
	s_cbranch_execz .LBB2_111
; %bb.108:
	s_mov_b32 s5, 0
	.p2align	6
.LBB2_109:                              ; =>This Inner Loop Header: Depth=1
	s_sleep 1
	s_clause 0x1
	global_load_b64 v[2:3], v1, s[2:3] offset:40
	global_load_b64 v[12:13], v1, s[2:3]
	v_dual_mov_b32 v11, v9 :: v_dual_mov_b32 v10, v8
	s_waitcnt vmcnt(1)
	s_delay_alu instid0(VALU_DEP_1) | instskip(SKIP_1) | instid1(VALU_DEP_1)
	v_and_b32_e32 v2, v2, v10
	s_waitcnt vmcnt(0)
	v_mad_u64_u32 v[7:8], null, v2, 24, v[12:13]
	s_delay_alu instid0(VALU_DEP_1) | instskip(NEXT) | instid1(VALU_DEP_1)
	v_dual_mov_b32 v2, v8 :: v_dual_and_b32 v9, v3, v11
	v_mad_u64_u32 v[3:4], null, v9, 24, v[2:3]
	s_delay_alu instid0(VALU_DEP_1)
	v_mov_b32_e32 v8, v3
	global_load_b64 v[8:9], v[7:8], off glc
	s_waitcnt vmcnt(0)
	global_atomic_cmpswap_b64 v[8:9], v1, v[8:11], s[2:3] offset:24 glc
	s_waitcnt vmcnt(0)
	buffer_gl1_inv
	buffer_gl0_inv
	v_cmp_eq_u64_e32 vcc_lo, v[8:9], v[10:11]
	s_or_b32 s5, vcc_lo, s5
	s_delay_alu instid0(SALU_CYCLE_1)
	s_and_not1_b32 exec_lo, exec_lo, s5
	s_cbranch_execnz .LBB2_109
; %bb.110:
	s_or_b32 exec_lo, exec_lo, s5
.LBB2_111:
	s_delay_alu instid0(SALU_CYCLE_1)
	s_or_b32 exec_lo, exec_lo, s4
.LBB2_112:
	s_delay_alu instid0(SALU_CYCLE_1)
	s_or_b32 exec_lo, exec_lo, s1
	v_mov_b32_e32 v7, 0
	v_readfirstlane_b32 s4, v8
	v_readfirstlane_b32 s5, v9
	s_mov_b32 s1, exec_lo
	s_clause 0x1
	global_load_b64 v[10:11], v7, s[2:3] offset:40
	global_load_b128 v[1:4], v7, s[2:3]
	s_waitcnt vmcnt(1)
	v_readfirstlane_b32 s6, v10
	v_readfirstlane_b32 s7, v11
	s_delay_alu instid0(VALU_DEP_1) | instskip(NEXT) | instid1(SALU_CYCLE_1)
	s_and_b64 s[6:7], s[4:5], s[6:7]
	s_mul_i32 s10, s7, 24
	s_mul_hi_u32 s11, s6, 24
	s_mul_i32 s12, s6, 24
	s_add_i32 s11, s11, s10
	s_waitcnt vmcnt(0)
	v_add_co_u32 v9, vcc_lo, v1, s12
	v_add_co_ci_u32_e32 v10, vcc_lo, s11, v2, vcc_lo
	s_and_saveexec_b32 s10, s0
	s_cbranch_execz .LBB2_114
; %bb.113:
	v_dual_mov_b32 v11, s1 :: v_dual_mov_b32 v12, v7
	v_dual_mov_b32 v13, 2 :: v_dual_mov_b32 v14, 1
	global_store_b128 v[9:10], v[11:14], off offset:8
.LBB2_114:
	s_or_b32 exec_lo, exec_lo, s10
	s_lshl_b64 s[6:7], s[6:7], 12
	s_mov_b32 s12, 0
	v_add_co_u32 v3, vcc_lo, v3, s6
	v_add_co_ci_u32_e32 v4, vcc_lo, s7, v4, vcc_lo
	s_mov_b32 s15, s12
	s_delay_alu instid0(VALU_DEP_2)
	v_add_co_u32 v11, vcc_lo, v3, v32
	s_mov_b32 s13, s12
	s_mov_b32 s14, s12
	v_and_or_b32 v5, 0xffffff1f, v5, 32
	v_mov_b32_e32 v8, v7
	v_readfirstlane_b32 s6, v3
	v_readfirstlane_b32 s7, v4
	v_dual_mov_b32 v16, s15 :: v_dual_mov_b32 v13, s12
	v_add_co_ci_u32_e32 v12, vcc_lo, 0, v4, vcc_lo
	v_dual_mov_b32 v15, s14 :: v_dual_mov_b32 v14, s13
	s_clause 0x3
	global_store_b128 v32, v[5:8], s[6:7]
	global_store_b128 v32, v[13:16], s[6:7] offset:16
	global_store_b128 v32, v[13:16], s[6:7] offset:32
	;; [unrolled: 1-line block ×3, first 2 shown]
	s_and_saveexec_b32 s1, s0
	s_cbranch_execz .LBB2_122
; %bb.115:
	v_dual_mov_b32 v7, 0 :: v_dual_mov_b32 v14, s5
	v_mov_b32_e32 v13, s4
	s_clause 0x1
	global_load_b64 v[15:16], v7, s[2:3] offset:32 glc
	global_load_b64 v[3:4], v7, s[2:3] offset:40
	s_waitcnt vmcnt(0)
	v_readfirstlane_b32 s6, v3
	v_readfirstlane_b32 s7, v4
	s_delay_alu instid0(VALU_DEP_1) | instskip(NEXT) | instid1(SALU_CYCLE_1)
	s_and_b64 s[6:7], s[6:7], s[4:5]
	s_mul_i32 s7, s7, 24
	s_mul_hi_u32 s10, s6, 24
	s_mul_i32 s6, s6, 24
	s_add_i32 s10, s10, s7
	v_add_co_u32 v5, vcc_lo, v1, s6
	v_add_co_ci_u32_e32 v6, vcc_lo, s10, v2, vcc_lo
	s_mov_b32 s6, exec_lo
	global_store_b64 v[5:6], v[15:16], off
	s_waitcnt_vscnt null, 0x0
	global_atomic_cmpswap_b64 v[3:4], v7, v[13:16], s[2:3] offset:32 glc
	s_waitcnt vmcnt(0)
	v_cmpx_ne_u64_e64 v[3:4], v[15:16]
	s_cbranch_execz .LBB2_118
; %bb.116:
	s_mov_b32 s7, 0
.LBB2_117:                              ; =>This Inner Loop Header: Depth=1
	v_dual_mov_b32 v1, s4 :: v_dual_mov_b32 v2, s5
	s_sleep 1
	global_store_b64 v[5:6], v[3:4], off
	s_waitcnt_vscnt null, 0x0
	global_atomic_cmpswap_b64 v[1:2], v7, v[1:4], s[2:3] offset:32 glc
	s_waitcnt vmcnt(0)
	v_cmp_eq_u64_e32 vcc_lo, v[1:2], v[3:4]
	v_dual_mov_b32 v4, v2 :: v_dual_mov_b32 v3, v1
	s_or_b32 s7, vcc_lo, s7
	s_delay_alu instid0(SALU_CYCLE_1)
	s_and_not1_b32 exec_lo, exec_lo, s7
	s_cbranch_execnz .LBB2_117
.LBB2_118:
	s_or_b32 exec_lo, exec_lo, s6
	v_mov_b32_e32 v4, 0
	s_mov_b32 s7, exec_lo
	s_mov_b32 s6, exec_lo
	v_mbcnt_lo_u32_b32 v3, s7, 0
	global_load_b64 v[1:2], v4, s[2:3] offset:16
	v_cmpx_eq_u32_e32 0, v3
	s_cbranch_execz .LBB2_120
; %bb.119:
	s_bcnt1_i32_b32 s7, s7
	s_delay_alu instid0(SALU_CYCLE_1)
	v_mov_b32_e32 v3, s7
	s_waitcnt vmcnt(0)
	global_atomic_add_u64 v[1:2], v[3:4], off offset:8
.LBB2_120:
	s_or_b32 exec_lo, exec_lo, s6
	s_waitcnt vmcnt(0)
	global_load_b64 v[3:4], v[1:2], off offset:16
	s_waitcnt vmcnt(0)
	v_cmp_eq_u64_e32 vcc_lo, 0, v[3:4]
	s_cbranch_vccnz .LBB2_122
; %bb.121:
	global_load_b32 v1, v[1:2], off offset:24
	s_waitcnt vmcnt(0)
	v_dual_mov_b32 v2, 0 :: v_dual_and_b32 v5, 0xffffff, v1
	s_waitcnt_vscnt null, 0x0
	global_store_b64 v[3:4], v[1:2], off
	v_readfirstlane_b32 m0, v5
	s_sendmsg sendmsg(MSG_INTERRUPT)
.LBB2_122:
	s_or_b32 exec_lo, exec_lo, s1
	s_branch .LBB2_126
	.p2align	6
.LBB2_123:                              ;   in Loop: Header=BB2_126 Depth=1
	s_or_b32 exec_lo, exec_lo, s1
	s_delay_alu instid0(VALU_DEP_1) | instskip(NEXT) | instid1(VALU_DEP_1)
	v_readfirstlane_b32 s1, v1
	s_cmp_eq_u32 s1, 0
	s_cbranch_scc1 .LBB2_125
; %bb.124:                              ;   in Loop: Header=BB2_126 Depth=1
	s_sleep 1
	s_cbranch_execnz .LBB2_126
	s_branch .LBB2_128
	.p2align	6
.LBB2_125:
	s_branch .LBB2_128
.LBB2_126:                              ; =>This Inner Loop Header: Depth=1
	v_mov_b32_e32 v1, 1
	s_and_saveexec_b32 s1, s0
	s_cbranch_execz .LBB2_123
; %bb.127:                              ;   in Loop: Header=BB2_126 Depth=1
	global_load_b32 v1, v[9:10], off offset:20 glc
	s_waitcnt vmcnt(0)
	buffer_gl1_inv
	buffer_gl0_inv
	v_and_b32_e32 v1, 1, v1
	s_branch .LBB2_123
.LBB2_128:
	global_load_b64 v[1:2], v[11:12], off
	s_and_saveexec_b32 s1, s0
	s_cbranch_execz .LBB2_132
; %bb.129:
	v_mov_b32_e32 v9, 0
	s_clause 0x2
	global_load_b64 v[5:6], v9, s[2:3] offset:40
	global_load_b64 v[10:11], v9, s[2:3] offset:24 glc
	global_load_b64 v[7:8], v9, s[2:3]
	s_waitcnt vmcnt(2)
	v_add_co_u32 v12, vcc_lo, v5, 1
	v_add_co_ci_u32_e32 v13, vcc_lo, 0, v6, vcc_lo
	s_delay_alu instid0(VALU_DEP_2) | instskip(NEXT) | instid1(VALU_DEP_2)
	v_add_co_u32 v3, vcc_lo, v12, s4
	v_add_co_ci_u32_e32 v4, vcc_lo, s5, v13, vcc_lo
	s_delay_alu instid0(VALU_DEP_1) | instskip(SKIP_1) | instid1(VALU_DEP_1)
	v_cmp_eq_u64_e32 vcc_lo, 0, v[3:4]
	v_dual_cndmask_b32 v4, v4, v13 :: v_dual_cndmask_b32 v3, v3, v12
	v_and_b32_e32 v6, v4, v6
	s_delay_alu instid0(VALU_DEP_2) | instskip(NEXT) | instid1(VALU_DEP_2)
	v_and_b32_e32 v5, v3, v5
	v_mul_lo_u32 v6, v6, 24
	s_delay_alu instid0(VALU_DEP_2) | instskip(SKIP_1) | instid1(VALU_DEP_2)
	v_mul_hi_u32 v12, v5, 24
	v_mul_lo_u32 v5, v5, 24
	v_add_nc_u32_e32 v6, v12, v6
	s_waitcnt vmcnt(0)
	s_delay_alu instid0(VALU_DEP_2) | instskip(SKIP_1) | instid1(VALU_DEP_3)
	v_add_co_u32 v7, vcc_lo, v7, v5
	v_mov_b32_e32 v5, v10
	v_add_co_ci_u32_e32 v8, vcc_lo, v8, v6, vcc_lo
	v_mov_b32_e32 v6, v11
	global_store_b64 v[7:8], v[10:11], off
	s_waitcnt_vscnt null, 0x0
	global_atomic_cmpswap_b64 v[5:6], v9, v[3:6], s[2:3] offset:24 glc
	s_waitcnt vmcnt(0)
	v_cmp_ne_u64_e32 vcc_lo, v[5:6], v[10:11]
	s_and_b32 exec_lo, exec_lo, vcc_lo
	s_cbranch_execz .LBB2_132
; %bb.130:
	s_mov_b32 s0, 0
.LBB2_131:                              ; =>This Inner Loop Header: Depth=1
	s_sleep 1
	global_store_b64 v[7:8], v[5:6], off
	s_waitcnt_vscnt null, 0x0
	global_atomic_cmpswap_b64 v[10:11], v9, v[3:6], s[2:3] offset:24 glc
	s_waitcnt vmcnt(0)
	v_cmp_eq_u64_e32 vcc_lo, v[10:11], v[5:6]
	v_dual_mov_b32 v5, v10 :: v_dual_mov_b32 v6, v11
	s_or_b32 s0, vcc_lo, s0
	s_delay_alu instid0(SALU_CYCLE_1)
	s_and_not1_b32 exec_lo, exec_lo, s0
	s_cbranch_execnz .LBB2_131
.LBB2_132:
	s_or_b32 exec_lo, exec_lo, s1
.LBB2_133:
	s_getpc_b64 s[0:1]
	s_add_u32 s0, s0, .str@rel32@lo+4
	s_addc_u32 s1, s1, .str@rel32@hi+12
	s_mov_b64 s[4:5], 0
	s_cmp_lg_u64 s[0:1], 0
	s_cselect_b32 s6, -1, 0
	s_cmp_eq_u64 s[0:1], 0
	s_cbranch_scc1 .LBB2_137
; %bb.134:
	s_waitcnt vmcnt(0)
	v_mov_b32_e32 v3, 0
	s_getpc_b64 s[0:1]
	s_add_u32 s0, s0, .str@rel32@lo+3
	s_addc_u32 s1, s1, .str@rel32@hi+11
.LBB2_135:                              ; =>This Inner Loop Header: Depth=1
	global_load_u8 v4, v3, s[0:1] offset:1
	s_add_u32 s4, s0, 1
	s_addc_u32 s5, s1, 0
	s_delay_alu instid0(SALU_CYCLE_1)
	s_mov_b64 s[0:1], s[4:5]
	s_waitcnt vmcnt(0)
	v_cmp_ne_u16_e32 vcc_lo, 0, v4
	s_cbranch_vccnz .LBB2_135
; %bb.136:
	s_getpc_b64 s[0:1]
	s_add_u32 s0, s0, .str@rel32@lo+4
	s_addc_u32 s1, s1, .str@rel32@hi+12
	s_sub_u32 s0, s4, s0
	s_subb_u32 s1, s5, s1
	s_add_u32 s4, s0, 1
	s_addc_u32 s5, s1, 0
.LBB2_137:
	s_and_b32 vcc_lo, exec_lo, s6
	s_cbranch_vccz .LBB2_215
; %bb.138:
	s_waitcnt vmcnt(0)
	v_dual_mov_b32 v7, 0 :: v_dual_and_b32 v34, 2, v1
	v_dual_mov_b32 v4, v2 :: v_dual_and_b32 v3, -3, v1
	v_dual_mov_b32 v8, 2 :: v_dual_mov_b32 v9, 1
	s_getpc_b64 s[6:7]
	s_add_u32 s6, s6, .str@rel32@lo+4
	s_addc_u32 s7, s7, .str@rel32@hi+12
	s_branch .LBB2_140
.LBB2_139:                              ;   in Loop: Header=BB2_140 Depth=1
	s_or_b32 exec_lo, exec_lo, s1
	s_sub_u32 s4, s4, s10
	s_subb_u32 s5, s5, s11
	s_add_u32 s6, s6, s10
	s_addc_u32 s7, s7, s11
	s_cmp_lg_u64 s[4:5], 0
	s_cbranch_scc0 .LBB2_216
.LBB2_140:                              ; =>This Loop Header: Depth=1
                                        ;     Child Loop BB2_149 Depth 2
                                        ;     Child Loop BB2_145 Depth 2
	;; [unrolled: 1-line block ×11, first 2 shown]
	v_cmp_lt_u64_e64 s0, s[4:5], 56
	v_cmp_gt_u64_e64 s1, s[4:5], 7
                                        ; implicit-def: $vgpr12_vgpr13
                                        ; implicit-def: $sgpr16
	s_delay_alu instid0(VALU_DEP_2) | instskip(SKIP_2) | instid1(VALU_DEP_1)
	s_and_b32 s0, s0, exec_lo
	s_cselect_b32 s11, s5, 0
	s_cselect_b32 s10, s4, 56
	s_and_b32 vcc_lo, exec_lo, s1
	s_mov_b32 s0, -1
	s_cbranch_vccz .LBB2_147
; %bb.141:                              ;   in Loop: Header=BB2_140 Depth=1
	s_and_not1_b32 vcc_lo, exec_lo, s0
	s_mov_b64 s[0:1], s[6:7]
	s_cbranch_vccz .LBB2_151
.LBB2_142:                              ;   in Loop: Header=BB2_140 Depth=1
	s_cmp_gt_u32 s16, 7
	s_cbranch_scc1 .LBB2_152
.LBB2_143:                              ;   in Loop: Header=BB2_140 Depth=1
	v_mov_b32_e32 v14, 0
	v_mov_b32_e32 v15, 0
	s_cmp_eq_u32 s16, 0
	s_cbranch_scc1 .LBB2_146
; %bb.144:                              ;   in Loop: Header=BB2_140 Depth=1
	s_mov_b64 s[12:13], 0
	s_mov_b64 s[14:15], 0
.LBB2_145:                              ;   Parent Loop BB2_140 Depth=1
                                        ; =>  This Inner Loop Header: Depth=2
	s_delay_alu instid0(SALU_CYCLE_1)
	s_add_u32 s18, s0, s14
	s_addc_u32 s19, s1, s15
	s_add_u32 s14, s14, 1
	global_load_u8 v5, v7, s[18:19]
	s_addc_u32 s15, s15, 0
	s_waitcnt vmcnt(0)
	v_and_b32_e32 v6, 0xffff, v5
	s_delay_alu instid0(VALU_DEP_1) | instskip(SKIP_3) | instid1(VALU_DEP_1)
	v_lshlrev_b64 v[5:6], s12, v[6:7]
	s_add_u32 s12, s12, 8
	s_addc_u32 s13, s13, 0
	s_cmp_lg_u32 s16, s14
	v_or_b32_e32 v14, v5, v14
	s_delay_alu instid0(VALU_DEP_2)
	v_or_b32_e32 v15, v6, v15
	s_cbranch_scc1 .LBB2_145
.LBB2_146:                              ;   in Loop: Header=BB2_140 Depth=1
	s_mov_b32 s17, 0
	s_cbranch_execz .LBB2_153
	s_branch .LBB2_154
.LBB2_147:                              ;   in Loop: Header=BB2_140 Depth=1
	v_mov_b32_e32 v12, 0
	v_mov_b32_e32 v13, 0
	s_cmp_eq_u64 s[4:5], 0
	s_mov_b64 s[0:1], 0
	s_cbranch_scc1 .LBB2_150
; %bb.148:                              ;   in Loop: Header=BB2_140 Depth=1
	v_mov_b32_e32 v12, 0
	v_mov_b32_e32 v13, 0
	s_lshl_b64 s[12:13], s[10:11], 3
	s_mov_b64 s[14:15], s[6:7]
.LBB2_149:                              ;   Parent Loop BB2_140 Depth=1
                                        ; =>  This Inner Loop Header: Depth=2
	global_load_u8 v5, v7, s[14:15]
	s_waitcnt vmcnt(0)
	v_and_b32_e32 v6, 0xffff, v5
	s_delay_alu instid0(VALU_DEP_1)
	v_lshlrev_b64 v[5:6], s0, v[6:7]
	s_add_u32 s0, s0, 8
	s_addc_u32 s1, s1, 0
	s_add_u32 s14, s14, 1
	s_addc_u32 s15, s15, 0
	s_cmp_lg_u32 s12, s0
	v_or_b32_e32 v12, v5, v12
	v_or_b32_e32 v13, v6, v13
	s_cbranch_scc1 .LBB2_149
.LBB2_150:                              ;   in Loop: Header=BB2_140 Depth=1
	s_mov_b32 s16, 0
	s_mov_b64 s[0:1], s[6:7]
	s_cbranch_execnz .LBB2_142
.LBB2_151:                              ;   in Loop: Header=BB2_140 Depth=1
	global_load_b64 v[12:13], v7, s[6:7]
	s_add_i32 s16, s10, -8
	s_add_u32 s0, s6, 8
	s_addc_u32 s1, s7, 0
	s_cmp_gt_u32 s16, 7
	s_cbranch_scc0 .LBB2_143
.LBB2_152:                              ;   in Loop: Header=BB2_140 Depth=1
                                        ; implicit-def: $vgpr14_vgpr15
                                        ; implicit-def: $sgpr17
.LBB2_153:                              ;   in Loop: Header=BB2_140 Depth=1
	global_load_b64 v[14:15], v7, s[0:1]
	s_add_i32 s17, s16, -8
	s_add_u32 s0, s0, 8
	s_addc_u32 s1, s1, 0
.LBB2_154:                              ;   in Loop: Header=BB2_140 Depth=1
	s_cmp_gt_u32 s17, 7
	s_cbranch_scc1 .LBB2_159
; %bb.155:                              ;   in Loop: Header=BB2_140 Depth=1
	v_mov_b32_e32 v16, 0
	v_mov_b32_e32 v17, 0
	s_cmp_eq_u32 s17, 0
	s_cbranch_scc1 .LBB2_158
; %bb.156:                              ;   in Loop: Header=BB2_140 Depth=1
	s_mov_b64 s[12:13], 0
	s_mov_b64 s[14:15], 0
.LBB2_157:                              ;   Parent Loop BB2_140 Depth=1
                                        ; =>  This Inner Loop Header: Depth=2
	s_delay_alu instid0(SALU_CYCLE_1)
	s_add_u32 s18, s0, s14
	s_addc_u32 s19, s1, s15
	s_add_u32 s14, s14, 1
	global_load_u8 v5, v7, s[18:19]
	s_addc_u32 s15, s15, 0
	s_waitcnt vmcnt(0)
	v_and_b32_e32 v6, 0xffff, v5
	s_delay_alu instid0(VALU_DEP_1) | instskip(SKIP_3) | instid1(VALU_DEP_1)
	v_lshlrev_b64 v[5:6], s12, v[6:7]
	s_add_u32 s12, s12, 8
	s_addc_u32 s13, s13, 0
	s_cmp_lg_u32 s17, s14
	v_or_b32_e32 v16, v5, v16
	s_delay_alu instid0(VALU_DEP_2)
	v_or_b32_e32 v17, v6, v17
	s_cbranch_scc1 .LBB2_157
.LBB2_158:                              ;   in Loop: Header=BB2_140 Depth=1
	s_mov_b32 s16, 0
	s_cbranch_execz .LBB2_160
	s_branch .LBB2_161
.LBB2_159:                              ;   in Loop: Header=BB2_140 Depth=1
                                        ; implicit-def: $sgpr16
.LBB2_160:                              ;   in Loop: Header=BB2_140 Depth=1
	global_load_b64 v[16:17], v7, s[0:1]
	s_add_i32 s16, s17, -8
	s_add_u32 s0, s0, 8
	s_addc_u32 s1, s1, 0
.LBB2_161:                              ;   in Loop: Header=BB2_140 Depth=1
	s_cmp_gt_u32 s16, 7
	s_cbranch_scc1 .LBB2_166
; %bb.162:                              ;   in Loop: Header=BB2_140 Depth=1
	v_mov_b32_e32 v18, 0
	v_mov_b32_e32 v19, 0
	s_cmp_eq_u32 s16, 0
	s_cbranch_scc1 .LBB2_165
; %bb.163:                              ;   in Loop: Header=BB2_140 Depth=1
	s_mov_b64 s[12:13], 0
	s_mov_b64 s[14:15], 0
.LBB2_164:                              ;   Parent Loop BB2_140 Depth=1
                                        ; =>  This Inner Loop Header: Depth=2
	s_delay_alu instid0(SALU_CYCLE_1)
	s_add_u32 s18, s0, s14
	s_addc_u32 s19, s1, s15
	s_add_u32 s14, s14, 1
	global_load_u8 v5, v7, s[18:19]
	s_addc_u32 s15, s15, 0
	s_waitcnt vmcnt(0)
	v_and_b32_e32 v6, 0xffff, v5
	s_delay_alu instid0(VALU_DEP_1) | instskip(SKIP_3) | instid1(VALU_DEP_1)
	v_lshlrev_b64 v[5:6], s12, v[6:7]
	s_add_u32 s12, s12, 8
	s_addc_u32 s13, s13, 0
	s_cmp_lg_u32 s16, s14
	v_or_b32_e32 v18, v5, v18
	s_delay_alu instid0(VALU_DEP_2)
	v_or_b32_e32 v19, v6, v19
	s_cbranch_scc1 .LBB2_164
.LBB2_165:                              ;   in Loop: Header=BB2_140 Depth=1
	s_mov_b32 s17, 0
	s_cbranch_execz .LBB2_167
	s_branch .LBB2_168
.LBB2_166:                              ;   in Loop: Header=BB2_140 Depth=1
                                        ; implicit-def: $vgpr18_vgpr19
                                        ; implicit-def: $sgpr17
.LBB2_167:                              ;   in Loop: Header=BB2_140 Depth=1
	global_load_b64 v[18:19], v7, s[0:1]
	s_add_i32 s17, s16, -8
	s_add_u32 s0, s0, 8
	s_addc_u32 s1, s1, 0
.LBB2_168:                              ;   in Loop: Header=BB2_140 Depth=1
	s_cmp_gt_u32 s17, 7
	s_cbranch_scc1 .LBB2_173
; %bb.169:                              ;   in Loop: Header=BB2_140 Depth=1
	v_mov_b32_e32 v20, 0
	v_mov_b32_e32 v21, 0
	s_cmp_eq_u32 s17, 0
	s_cbranch_scc1 .LBB2_172
; %bb.170:                              ;   in Loop: Header=BB2_140 Depth=1
	s_mov_b64 s[12:13], 0
	s_mov_b64 s[14:15], 0
.LBB2_171:                              ;   Parent Loop BB2_140 Depth=1
                                        ; =>  This Inner Loop Header: Depth=2
	s_delay_alu instid0(SALU_CYCLE_1)
	s_add_u32 s18, s0, s14
	s_addc_u32 s19, s1, s15
	s_add_u32 s14, s14, 1
	global_load_u8 v5, v7, s[18:19]
	s_addc_u32 s15, s15, 0
	s_waitcnt vmcnt(0)
	v_and_b32_e32 v6, 0xffff, v5
	s_delay_alu instid0(VALU_DEP_1) | instskip(SKIP_3) | instid1(VALU_DEP_1)
	v_lshlrev_b64 v[5:6], s12, v[6:7]
	s_add_u32 s12, s12, 8
	s_addc_u32 s13, s13, 0
	s_cmp_lg_u32 s17, s14
	v_or_b32_e32 v20, v5, v20
	s_delay_alu instid0(VALU_DEP_2)
	v_or_b32_e32 v21, v6, v21
	s_cbranch_scc1 .LBB2_171
.LBB2_172:                              ;   in Loop: Header=BB2_140 Depth=1
	s_mov_b32 s16, 0
	s_cbranch_execz .LBB2_174
	s_branch .LBB2_175
.LBB2_173:                              ;   in Loop: Header=BB2_140 Depth=1
                                        ; implicit-def: $sgpr16
.LBB2_174:                              ;   in Loop: Header=BB2_140 Depth=1
	global_load_b64 v[20:21], v7, s[0:1]
	s_add_i32 s16, s17, -8
	s_add_u32 s0, s0, 8
	s_addc_u32 s1, s1, 0
.LBB2_175:                              ;   in Loop: Header=BB2_140 Depth=1
	s_cmp_gt_u32 s16, 7
	s_cbranch_scc1 .LBB2_180
; %bb.176:                              ;   in Loop: Header=BB2_140 Depth=1
	v_mov_b32_e32 v22, 0
	v_mov_b32_e32 v23, 0
	s_cmp_eq_u32 s16, 0
	s_cbranch_scc1 .LBB2_179
; %bb.177:                              ;   in Loop: Header=BB2_140 Depth=1
	s_mov_b64 s[12:13], 0
	s_mov_b64 s[14:15], 0
.LBB2_178:                              ;   Parent Loop BB2_140 Depth=1
                                        ; =>  This Inner Loop Header: Depth=2
	s_delay_alu instid0(SALU_CYCLE_1)
	s_add_u32 s18, s0, s14
	s_addc_u32 s19, s1, s15
	s_add_u32 s14, s14, 1
	global_load_u8 v5, v7, s[18:19]
	s_addc_u32 s15, s15, 0
	s_waitcnt vmcnt(0)
	v_and_b32_e32 v6, 0xffff, v5
	s_delay_alu instid0(VALU_DEP_1) | instskip(SKIP_3) | instid1(VALU_DEP_1)
	v_lshlrev_b64 v[5:6], s12, v[6:7]
	s_add_u32 s12, s12, 8
	s_addc_u32 s13, s13, 0
	s_cmp_lg_u32 s16, s14
	v_or_b32_e32 v22, v5, v22
	s_delay_alu instid0(VALU_DEP_2)
	v_or_b32_e32 v23, v6, v23
	s_cbranch_scc1 .LBB2_178
.LBB2_179:                              ;   in Loop: Header=BB2_140 Depth=1
	s_mov_b32 s17, 0
	s_cbranch_execz .LBB2_181
	s_branch .LBB2_182
.LBB2_180:                              ;   in Loop: Header=BB2_140 Depth=1
                                        ; implicit-def: $vgpr22_vgpr23
                                        ; implicit-def: $sgpr17
.LBB2_181:                              ;   in Loop: Header=BB2_140 Depth=1
	global_load_b64 v[22:23], v7, s[0:1]
	s_add_i32 s17, s16, -8
	s_add_u32 s0, s0, 8
	s_addc_u32 s1, s1, 0
.LBB2_182:                              ;   in Loop: Header=BB2_140 Depth=1
	s_cmp_gt_u32 s17, 7
	s_cbranch_scc1 .LBB2_187
; %bb.183:                              ;   in Loop: Header=BB2_140 Depth=1
	v_mov_b32_e32 v24, 0
	v_mov_b32_e32 v25, 0
	s_cmp_eq_u32 s17, 0
	s_cbranch_scc1 .LBB2_186
; %bb.184:                              ;   in Loop: Header=BB2_140 Depth=1
	s_mov_b64 s[12:13], 0
	s_mov_b64 s[14:15], s[0:1]
.LBB2_185:                              ;   Parent Loop BB2_140 Depth=1
                                        ; =>  This Inner Loop Header: Depth=2
	global_load_u8 v5, v7, s[14:15]
	s_add_i32 s17, s17, -1
	s_waitcnt vmcnt(0)
	v_and_b32_e32 v6, 0xffff, v5
	s_delay_alu instid0(VALU_DEP_1)
	v_lshlrev_b64 v[5:6], s12, v[6:7]
	s_add_u32 s12, s12, 8
	s_addc_u32 s13, s13, 0
	s_add_u32 s14, s14, 1
	s_addc_u32 s15, s15, 0
	s_cmp_lg_u32 s17, 0
	v_or_b32_e32 v24, v5, v24
	v_or_b32_e32 v25, v6, v25
	s_cbranch_scc1 .LBB2_185
.LBB2_186:                              ;   in Loop: Header=BB2_140 Depth=1
	s_cbranch_execz .LBB2_188
	s_branch .LBB2_189
.LBB2_187:                              ;   in Loop: Header=BB2_140 Depth=1
.LBB2_188:                              ;   in Loop: Header=BB2_140 Depth=1
	global_load_b64 v[24:25], v7, s[0:1]
.LBB2_189:                              ;   in Loop: Header=BB2_140 Depth=1
	v_readfirstlane_b32 s0, v33
	s_waitcnt vmcnt(0)
	v_mov_b32_e32 v5, 0
	v_mov_b32_e32 v6, 0
	s_delay_alu instid0(VALU_DEP_3) | instskip(NEXT) | instid1(VALU_DEP_1)
	v_cmp_eq_u32_e64 s0, s0, v33
	s_and_saveexec_b32 s1, s0
	s_cbranch_execz .LBB2_195
; %bb.190:                              ;   in Loop: Header=BB2_140 Depth=1
	global_load_b64 v[28:29], v7, s[2:3] offset:24 glc
	s_waitcnt vmcnt(0)
	buffer_gl1_inv
	buffer_gl0_inv
	s_clause 0x1
	global_load_b64 v[5:6], v7, s[2:3] offset:40
	global_load_b64 v[10:11], v7, s[2:3]
	s_mov_b32 s12, exec_lo
	s_waitcnt vmcnt(1)
	v_and_b32_e32 v6, v6, v29
	v_and_b32_e32 v5, v5, v28
	s_delay_alu instid0(VALU_DEP_2) | instskip(NEXT) | instid1(VALU_DEP_2)
	v_mul_lo_u32 v6, v6, 24
	v_mul_hi_u32 v26, v5, 24
	v_mul_lo_u32 v5, v5, 24
	s_delay_alu instid0(VALU_DEP_2) | instskip(SKIP_1) | instid1(VALU_DEP_2)
	v_add_nc_u32_e32 v6, v26, v6
	s_waitcnt vmcnt(0)
	v_add_co_u32 v5, vcc_lo, v10, v5
	s_delay_alu instid0(VALU_DEP_2)
	v_add_co_ci_u32_e32 v6, vcc_lo, v11, v6, vcc_lo
	global_load_b64 v[26:27], v[5:6], off glc
	s_waitcnt vmcnt(0)
	global_atomic_cmpswap_b64 v[5:6], v7, v[26:29], s[2:3] offset:24 glc
	s_waitcnt vmcnt(0)
	buffer_gl1_inv
	buffer_gl0_inv
	v_cmpx_ne_u64_e64 v[5:6], v[28:29]
	s_cbranch_execz .LBB2_194
; %bb.191:                              ;   in Loop: Header=BB2_140 Depth=1
	s_mov_b32 s13, 0
	.p2align	6
.LBB2_192:                              ;   Parent Loop BB2_140 Depth=1
                                        ; =>  This Inner Loop Header: Depth=2
	s_sleep 1
	s_clause 0x1
	global_load_b64 v[10:11], v7, s[2:3] offset:40
	global_load_b64 v[26:27], v7, s[2:3]
	v_dual_mov_b32 v29, v6 :: v_dual_mov_b32 v28, v5
	s_waitcnt vmcnt(1)
	s_delay_alu instid0(VALU_DEP_1) | instskip(SKIP_1) | instid1(VALU_DEP_1)
	v_and_b32_e32 v10, v10, v28
	s_waitcnt vmcnt(0)
	v_mad_u64_u32 v[5:6], null, v10, 24, v[26:27]
	v_and_b32_e32 v26, v11, v29
	s_delay_alu instid0(VALU_DEP_1) | instskip(NEXT) | instid1(VALU_DEP_1)
	v_mad_u64_u32 v[10:11], null, v26, 24, v[6:7]
	v_mov_b32_e32 v6, v10
	global_load_b64 v[26:27], v[5:6], off glc
	s_waitcnt vmcnt(0)
	global_atomic_cmpswap_b64 v[5:6], v7, v[26:29], s[2:3] offset:24 glc
	s_waitcnt vmcnt(0)
	buffer_gl1_inv
	buffer_gl0_inv
	v_cmp_eq_u64_e32 vcc_lo, v[5:6], v[28:29]
	s_or_b32 s13, vcc_lo, s13
	s_delay_alu instid0(SALU_CYCLE_1)
	s_and_not1_b32 exec_lo, exec_lo, s13
	s_cbranch_execnz .LBB2_192
; %bb.193:                              ;   in Loop: Header=BB2_140 Depth=1
	s_or_b32 exec_lo, exec_lo, s13
.LBB2_194:                              ;   in Loop: Header=BB2_140 Depth=1
	s_delay_alu instid0(SALU_CYCLE_1)
	s_or_b32 exec_lo, exec_lo, s12
.LBB2_195:                              ;   in Loop: Header=BB2_140 Depth=1
	s_delay_alu instid0(SALU_CYCLE_1)
	s_or_b32 exec_lo, exec_lo, s1
	s_clause 0x1
	global_load_b64 v[10:11], v7, s[2:3] offset:40
	global_load_b128 v[26:29], v7, s[2:3]
	v_readfirstlane_b32 s12, v5
	v_readfirstlane_b32 s13, v6
	s_mov_b32 s1, exec_lo
	s_waitcnt vmcnt(1)
	v_readfirstlane_b32 s14, v10
	v_readfirstlane_b32 s15, v11
	s_delay_alu instid0(VALU_DEP_1) | instskip(NEXT) | instid1(SALU_CYCLE_1)
	s_and_b64 s[14:15], s[12:13], s[14:15]
	s_mul_i32 s16, s15, 24
	s_mul_hi_u32 s17, s14, 24
	s_mul_i32 s18, s14, 24
	s_add_i32 s17, s17, s16
	s_waitcnt vmcnt(0)
	v_add_co_u32 v30, vcc_lo, v26, s18
	v_add_co_ci_u32_e32 v31, vcc_lo, s17, v27, vcc_lo
	s_and_saveexec_b32 s16, s0
	s_cbranch_execz .LBB2_197
; %bb.196:                              ;   in Loop: Header=BB2_140 Depth=1
	v_mov_b32_e32 v6, s1
	global_store_b128 v[30:31], v[6:9], off offset:8
.LBB2_197:                              ;   in Loop: Header=BB2_140 Depth=1
	s_or_b32 exec_lo, exec_lo, s16
	s_lshl_b64 s[14:15], s[14:15], 12
	v_cmp_gt_u64_e64 vcc_lo, s[4:5], 56
	v_or_b32_e32 v6, v3, v34
	v_add_co_u32 v28, s1, v28, s14
	s_delay_alu instid0(VALU_DEP_1)
	v_add_co_ci_u32_e64 v29, s1, s15, v29, s1
	s_lshl_b32 s1, s10, 2
	v_or_b32_e32 v5, 0, v4
	v_cndmask_b32_e32 v3, v6, v3, vcc_lo
	s_add_i32 s1, s1, 28
	v_readfirstlane_b32 s14, v28
	s_and_b32 s1, s1, 0x1e0
	v_cndmask_b32_e32 v11, v5, v4, vcc_lo
	v_readfirstlane_b32 s15, v29
	v_and_or_b32 v10, 0xffffff1f, v3, s1
	s_clause 0x3
	global_store_b128 v32, v[10:13], s[14:15]
	global_store_b128 v32, v[14:17], s[14:15] offset:16
	global_store_b128 v32, v[18:21], s[14:15] offset:32
	;; [unrolled: 1-line block ×3, first 2 shown]
	s_and_saveexec_b32 s1, s0
	s_cbranch_execz .LBB2_205
; %bb.198:                              ;   in Loop: Header=BB2_140 Depth=1
	s_clause 0x1
	global_load_b64 v[14:15], v7, s[2:3] offset:32 glc
	global_load_b64 v[3:4], v7, s[2:3] offset:40
	v_dual_mov_b32 v12, s12 :: v_dual_mov_b32 v13, s13
	s_waitcnt vmcnt(0)
	v_readfirstlane_b32 s14, v3
	v_readfirstlane_b32 s15, v4
	s_delay_alu instid0(VALU_DEP_1) | instskip(NEXT) | instid1(SALU_CYCLE_1)
	s_and_b64 s[14:15], s[14:15], s[12:13]
	s_mul_i32 s15, s15, 24
	s_mul_hi_u32 s16, s14, 24
	s_mul_i32 s14, s14, 24
	s_add_i32 s16, s16, s15
	v_add_co_u32 v10, vcc_lo, v26, s14
	v_add_co_ci_u32_e32 v11, vcc_lo, s16, v27, vcc_lo
	s_mov_b32 s14, exec_lo
	global_store_b64 v[10:11], v[14:15], off
	s_waitcnt_vscnt null, 0x0
	global_atomic_cmpswap_b64 v[5:6], v7, v[12:15], s[2:3] offset:32 glc
	s_waitcnt vmcnt(0)
	v_cmpx_ne_u64_e64 v[5:6], v[14:15]
	s_cbranch_execz .LBB2_201
; %bb.199:                              ;   in Loop: Header=BB2_140 Depth=1
	s_mov_b32 s15, 0
.LBB2_200:                              ;   Parent Loop BB2_140 Depth=1
                                        ; =>  This Inner Loop Header: Depth=2
	v_dual_mov_b32 v3, s12 :: v_dual_mov_b32 v4, s13
	s_sleep 1
	global_store_b64 v[10:11], v[5:6], off
	s_waitcnt_vscnt null, 0x0
	global_atomic_cmpswap_b64 v[3:4], v7, v[3:6], s[2:3] offset:32 glc
	s_waitcnt vmcnt(0)
	v_cmp_eq_u64_e32 vcc_lo, v[3:4], v[5:6]
	v_dual_mov_b32 v6, v4 :: v_dual_mov_b32 v5, v3
	s_or_b32 s15, vcc_lo, s15
	s_delay_alu instid0(SALU_CYCLE_1)
	s_and_not1_b32 exec_lo, exec_lo, s15
	s_cbranch_execnz .LBB2_200
.LBB2_201:                              ;   in Loop: Header=BB2_140 Depth=1
	s_or_b32 exec_lo, exec_lo, s14
	global_load_b64 v[3:4], v7, s[2:3] offset:16
	s_mov_b32 s15, exec_lo
	s_mov_b32 s14, exec_lo
	v_mbcnt_lo_u32_b32 v5, s15, 0
	s_delay_alu instid0(VALU_DEP_1)
	v_cmpx_eq_u32_e32 0, v5
	s_cbranch_execz .LBB2_203
; %bb.202:                              ;   in Loop: Header=BB2_140 Depth=1
	s_bcnt1_i32_b32 s15, s15
	s_delay_alu instid0(SALU_CYCLE_1)
	v_mov_b32_e32 v6, s15
	s_waitcnt vmcnt(0)
	global_atomic_add_u64 v[3:4], v[6:7], off offset:8
.LBB2_203:                              ;   in Loop: Header=BB2_140 Depth=1
	s_or_b32 exec_lo, exec_lo, s14
	s_waitcnt vmcnt(0)
	global_load_b64 v[10:11], v[3:4], off offset:16
	s_waitcnt vmcnt(0)
	v_cmp_eq_u64_e32 vcc_lo, 0, v[10:11]
	s_cbranch_vccnz .LBB2_205
; %bb.204:                              ;   in Loop: Header=BB2_140 Depth=1
	global_load_b32 v6, v[3:4], off offset:24
	s_waitcnt vmcnt(0)
	v_and_b32_e32 v3, 0xffffff, v6
	s_waitcnt_vscnt null, 0x0
	global_store_b64 v[10:11], v[6:7], off
	v_readfirstlane_b32 m0, v3
	s_sendmsg sendmsg(MSG_INTERRUPT)
.LBB2_205:                              ;   in Loop: Header=BB2_140 Depth=1
	s_or_b32 exec_lo, exec_lo, s1
	v_add_co_u32 v3, vcc_lo, v28, v32
	v_add_co_ci_u32_e32 v4, vcc_lo, 0, v29, vcc_lo
	s_branch .LBB2_209
	.p2align	6
.LBB2_206:                              ;   in Loop: Header=BB2_209 Depth=2
	s_or_b32 exec_lo, exec_lo, s1
	s_delay_alu instid0(VALU_DEP_1) | instskip(NEXT) | instid1(VALU_DEP_1)
	v_readfirstlane_b32 s1, v5
	s_cmp_eq_u32 s1, 0
	s_cbranch_scc1 .LBB2_208
; %bb.207:                              ;   in Loop: Header=BB2_209 Depth=2
	s_sleep 1
	s_cbranch_execnz .LBB2_209
	s_branch .LBB2_211
	.p2align	6
.LBB2_208:                              ;   in Loop: Header=BB2_140 Depth=1
	s_branch .LBB2_211
.LBB2_209:                              ;   Parent Loop BB2_140 Depth=1
                                        ; =>  This Inner Loop Header: Depth=2
	v_mov_b32_e32 v5, 1
	s_and_saveexec_b32 s1, s0
	s_cbranch_execz .LBB2_206
; %bb.210:                              ;   in Loop: Header=BB2_209 Depth=2
	global_load_b32 v5, v[30:31], off offset:20 glc
	s_waitcnt vmcnt(0)
	buffer_gl1_inv
	buffer_gl0_inv
	v_and_b32_e32 v5, 1, v5
	s_branch .LBB2_206
.LBB2_211:                              ;   in Loop: Header=BB2_140 Depth=1
	global_load_b128 v[3:6], v[3:4], off
	s_and_saveexec_b32 s1, s0
	s_cbranch_execz .LBB2_139
; %bb.212:                              ;   in Loop: Header=BB2_140 Depth=1
	s_clause 0x2
	global_load_b64 v[5:6], v7, s[2:3] offset:40
	global_load_b64 v[14:15], v7, s[2:3] offset:24 glc
	global_load_b64 v[12:13], v7, s[2:3]
	s_waitcnt vmcnt(2)
	v_add_co_u32 v16, vcc_lo, v5, 1
	v_add_co_ci_u32_e32 v17, vcc_lo, 0, v6, vcc_lo
	s_delay_alu instid0(VALU_DEP_2) | instskip(NEXT) | instid1(VALU_DEP_2)
	v_add_co_u32 v10, vcc_lo, v16, s12
	v_add_co_ci_u32_e32 v11, vcc_lo, s13, v17, vcc_lo
	s_delay_alu instid0(VALU_DEP_1) | instskip(SKIP_1) | instid1(VALU_DEP_1)
	v_cmp_eq_u64_e32 vcc_lo, 0, v[10:11]
	v_dual_cndmask_b32 v11, v11, v17 :: v_dual_cndmask_b32 v10, v10, v16
	v_and_b32_e32 v6, v11, v6
	s_delay_alu instid0(VALU_DEP_2) | instskip(NEXT) | instid1(VALU_DEP_2)
	v_and_b32_e32 v5, v10, v5
	v_mul_lo_u32 v6, v6, 24
	s_delay_alu instid0(VALU_DEP_2) | instskip(SKIP_1) | instid1(VALU_DEP_2)
	v_mul_hi_u32 v16, v5, 24
	v_mul_lo_u32 v5, v5, 24
	v_add_nc_u32_e32 v6, v16, v6
	s_waitcnt vmcnt(0)
	s_delay_alu instid0(VALU_DEP_2) | instskip(SKIP_1) | instid1(VALU_DEP_3)
	v_add_co_u32 v5, vcc_lo, v12, v5
	v_mov_b32_e32 v12, v14
	v_add_co_ci_u32_e32 v6, vcc_lo, v13, v6, vcc_lo
	v_mov_b32_e32 v13, v15
	global_store_b64 v[5:6], v[14:15], off
	s_waitcnt_vscnt null, 0x0
	global_atomic_cmpswap_b64 v[12:13], v7, v[10:13], s[2:3] offset:24 glc
	s_waitcnt vmcnt(0)
	v_cmp_ne_u64_e32 vcc_lo, v[12:13], v[14:15]
	s_and_b32 exec_lo, exec_lo, vcc_lo
	s_cbranch_execz .LBB2_139
; %bb.213:                              ;   in Loop: Header=BB2_140 Depth=1
	s_mov_b32 s0, 0
.LBB2_214:                              ;   Parent Loop BB2_140 Depth=1
                                        ; =>  This Inner Loop Header: Depth=2
	s_sleep 1
	global_store_b64 v[5:6], v[12:13], off
	s_waitcnt_vscnt null, 0x0
	global_atomic_cmpswap_b64 v[14:15], v7, v[10:13], s[2:3] offset:24 glc
	s_waitcnt vmcnt(0)
	v_cmp_eq_u64_e32 vcc_lo, v[14:15], v[12:13]
	v_dual_mov_b32 v12, v14 :: v_dual_mov_b32 v13, v15
	s_or_b32 s0, vcc_lo, s0
	s_delay_alu instid0(SALU_CYCLE_1)
	s_and_not1_b32 exec_lo, exec_lo, s0
	s_cbranch_execnz .LBB2_214
	s_branch .LBB2_139
.LBB2_215:
                                        ; implicit-def: $vgpr3_vgpr4
	s_cbranch_execnz .LBB2_217
	s_branch .LBB2_244
.LBB2_216:
	s_branch .LBB2_244
.LBB2_217:
	v_readfirstlane_b32 s0, v33
	v_mov_b32_e32 v9, 0
	v_mov_b32_e32 v10, 0
	s_delay_alu instid0(VALU_DEP_3) | instskip(NEXT) | instid1(VALU_DEP_1)
	v_cmp_eq_u32_e64 s0, s0, v33
	s_and_saveexec_b32 s1, s0
	s_cbranch_execz .LBB2_223
; %bb.218:
	s_waitcnt vmcnt(0)
	v_mov_b32_e32 v3, 0
	s_mov_b32 s4, exec_lo
	global_load_b64 v[6:7], v3, s[2:3] offset:24 glc
	s_waitcnt vmcnt(0)
	buffer_gl1_inv
	buffer_gl0_inv
	s_clause 0x1
	global_load_b64 v[4:5], v3, s[2:3] offset:40
	global_load_b64 v[8:9], v3, s[2:3]
	s_waitcnt vmcnt(1)
	v_and_b32_e32 v4, v4, v6
	v_and_b32_e32 v5, v5, v7
	s_delay_alu instid0(VALU_DEP_2) | instskip(NEXT) | instid1(VALU_DEP_2)
	v_mul_hi_u32 v10, v4, 24
	v_mul_lo_u32 v5, v5, 24
	v_mul_lo_u32 v4, v4, 24
	s_delay_alu instid0(VALU_DEP_2) | instskip(SKIP_1) | instid1(VALU_DEP_2)
	v_add_nc_u32_e32 v5, v10, v5
	s_waitcnt vmcnt(0)
	v_add_co_u32 v4, vcc_lo, v8, v4
	s_delay_alu instid0(VALU_DEP_2)
	v_add_co_ci_u32_e32 v5, vcc_lo, v9, v5, vcc_lo
	global_load_b64 v[4:5], v[4:5], off glc
	s_waitcnt vmcnt(0)
	global_atomic_cmpswap_b64 v[9:10], v3, v[4:7], s[2:3] offset:24 glc
	s_waitcnt vmcnt(0)
	buffer_gl1_inv
	buffer_gl0_inv
	v_cmpx_ne_u64_e64 v[9:10], v[6:7]
	s_cbranch_execz .LBB2_222
; %bb.219:
	s_mov_b32 s5, 0
	.p2align	6
.LBB2_220:                              ; =>This Inner Loop Header: Depth=1
	s_sleep 1
	s_clause 0x1
	global_load_b64 v[4:5], v3, s[2:3] offset:40
	global_load_b64 v[11:12], v3, s[2:3]
	v_dual_mov_b32 v6, v9 :: v_dual_mov_b32 v7, v10
	s_waitcnt vmcnt(1)
	s_delay_alu instid0(VALU_DEP_1) | instskip(NEXT) | instid1(VALU_DEP_2)
	v_and_b32_e32 v4, v4, v6
	v_and_b32_e32 v5, v5, v7
	s_waitcnt vmcnt(0)
	s_delay_alu instid0(VALU_DEP_2) | instskip(NEXT) | instid1(VALU_DEP_1)
	v_mad_u64_u32 v[8:9], null, v4, 24, v[11:12]
	v_mov_b32_e32 v4, v9
	s_delay_alu instid0(VALU_DEP_1)
	v_mad_u64_u32 v[9:10], null, v5, 24, v[4:5]
	global_load_b64 v[4:5], v[8:9], off glc
	s_waitcnt vmcnt(0)
	global_atomic_cmpswap_b64 v[9:10], v3, v[4:7], s[2:3] offset:24 glc
	s_waitcnt vmcnt(0)
	buffer_gl1_inv
	buffer_gl0_inv
	v_cmp_eq_u64_e32 vcc_lo, v[9:10], v[6:7]
	s_or_b32 s5, vcc_lo, s5
	s_delay_alu instid0(SALU_CYCLE_1)
	s_and_not1_b32 exec_lo, exec_lo, s5
	s_cbranch_execnz .LBB2_220
; %bb.221:
	s_or_b32 exec_lo, exec_lo, s5
.LBB2_222:
	s_delay_alu instid0(SALU_CYCLE_1)
	s_or_b32 exec_lo, exec_lo, s4
.LBB2_223:
	s_delay_alu instid0(SALU_CYCLE_1)
	s_or_b32 exec_lo, exec_lo, s1
	s_waitcnt vmcnt(0)
	v_mov_b32_e32 v3, 0
	v_readfirstlane_b32 s4, v9
	v_readfirstlane_b32 s5, v10
	s_mov_b32 s1, exec_lo
	s_clause 0x1
	global_load_b64 v[11:12], v3, s[2:3] offset:40
	global_load_b128 v[5:8], v3, s[2:3]
	s_waitcnt vmcnt(1)
	v_readfirstlane_b32 s6, v11
	v_readfirstlane_b32 s7, v12
	s_delay_alu instid0(VALU_DEP_1) | instskip(NEXT) | instid1(SALU_CYCLE_1)
	s_and_b64 s[6:7], s[4:5], s[6:7]
	s_mul_i32 s10, s7, 24
	s_mul_hi_u32 s11, s6, 24
	s_mul_i32 s12, s6, 24
	s_add_i32 s11, s11, s10
	s_waitcnt vmcnt(0)
	v_add_co_u32 v9, vcc_lo, v5, s12
	v_add_co_ci_u32_e32 v10, vcc_lo, s11, v6, vcc_lo
	s_and_saveexec_b32 s10, s0
	s_cbranch_execz .LBB2_225
; %bb.224:
	v_dual_mov_b32 v11, s1 :: v_dual_mov_b32 v12, v3
	v_dual_mov_b32 v13, 2 :: v_dual_mov_b32 v14, 1
	global_store_b128 v[9:10], v[11:14], off offset:8
.LBB2_225:
	s_or_b32 exec_lo, exec_lo, s10
	s_lshl_b64 s[6:7], s[6:7], 12
	s_mov_b32 s12, 0
	v_add_co_u32 v7, vcc_lo, v7, s6
	v_add_co_ci_u32_e32 v8, vcc_lo, s7, v8, vcc_lo
	s_mov_b32 s13, s12
	s_delay_alu instid0(VALU_DEP_2)
	v_readfirstlane_b32 s6, v7
	v_add_co_u32 v7, vcc_lo, v7, v32
	s_mov_b32 s14, s12
	s_mov_b32 s15, s12
	v_and_or_b32 v1, 0xffffff1f, v1, 32
	v_dual_mov_b32 v4, v3 :: v_dual_mov_b32 v11, s12
	v_readfirstlane_b32 s7, v8
	v_add_co_ci_u32_e32 v8, vcc_lo, 0, v8, vcc_lo
	v_dual_mov_b32 v12, s13 :: v_dual_mov_b32 v13, s14
	v_mov_b32_e32 v14, s15
	s_clause 0x3
	global_store_b128 v32, v[1:4], s[6:7]
	global_store_b128 v32, v[11:14], s[6:7] offset:16
	global_store_b128 v32, v[11:14], s[6:7] offset:32
	;; [unrolled: 1-line block ×3, first 2 shown]
	s_and_saveexec_b32 s1, s0
	s_cbranch_execz .LBB2_233
; %bb.226:
	v_dual_mov_b32 v11, 0 :: v_dual_mov_b32 v12, s4
	v_mov_b32_e32 v13, s5
	s_clause 0x1
	global_load_b64 v[14:15], v11, s[2:3] offset:32 glc
	global_load_b64 v[1:2], v11, s[2:3] offset:40
	s_waitcnt vmcnt(0)
	v_readfirstlane_b32 s6, v1
	v_readfirstlane_b32 s7, v2
	s_delay_alu instid0(VALU_DEP_1) | instskip(NEXT) | instid1(SALU_CYCLE_1)
	s_and_b64 s[6:7], s[6:7], s[4:5]
	s_mul_i32 s7, s7, 24
	s_mul_hi_u32 s10, s6, 24
	s_mul_i32 s6, s6, 24
	s_add_i32 s10, s10, s7
	v_add_co_u32 v5, vcc_lo, v5, s6
	v_add_co_ci_u32_e32 v6, vcc_lo, s10, v6, vcc_lo
	s_mov_b32 s6, exec_lo
	global_store_b64 v[5:6], v[14:15], off
	s_waitcnt_vscnt null, 0x0
	global_atomic_cmpswap_b64 v[3:4], v11, v[12:15], s[2:3] offset:32 glc
	s_waitcnt vmcnt(0)
	v_cmpx_ne_u64_e64 v[3:4], v[14:15]
	s_cbranch_execz .LBB2_229
; %bb.227:
	s_mov_b32 s7, 0
.LBB2_228:                              ; =>This Inner Loop Header: Depth=1
	v_dual_mov_b32 v1, s4 :: v_dual_mov_b32 v2, s5
	s_sleep 1
	global_store_b64 v[5:6], v[3:4], off
	s_waitcnt_vscnt null, 0x0
	global_atomic_cmpswap_b64 v[1:2], v11, v[1:4], s[2:3] offset:32 glc
	s_waitcnt vmcnt(0)
	v_cmp_eq_u64_e32 vcc_lo, v[1:2], v[3:4]
	v_dual_mov_b32 v4, v2 :: v_dual_mov_b32 v3, v1
	s_or_b32 s7, vcc_lo, s7
	s_delay_alu instid0(SALU_CYCLE_1)
	s_and_not1_b32 exec_lo, exec_lo, s7
	s_cbranch_execnz .LBB2_228
.LBB2_229:
	s_or_b32 exec_lo, exec_lo, s6
	v_mov_b32_e32 v4, 0
	s_mov_b32 s7, exec_lo
	s_mov_b32 s6, exec_lo
	v_mbcnt_lo_u32_b32 v3, s7, 0
	global_load_b64 v[1:2], v4, s[2:3] offset:16
	v_cmpx_eq_u32_e32 0, v3
	s_cbranch_execz .LBB2_231
; %bb.230:
	s_bcnt1_i32_b32 s7, s7
	s_delay_alu instid0(SALU_CYCLE_1)
	v_mov_b32_e32 v3, s7
	s_waitcnt vmcnt(0)
	global_atomic_add_u64 v[1:2], v[3:4], off offset:8
.LBB2_231:
	s_or_b32 exec_lo, exec_lo, s6
	s_waitcnt vmcnt(0)
	global_load_b64 v[3:4], v[1:2], off offset:16
	s_waitcnt vmcnt(0)
	v_cmp_eq_u64_e32 vcc_lo, 0, v[3:4]
	s_cbranch_vccnz .LBB2_233
; %bb.232:
	global_load_b32 v1, v[1:2], off offset:24
	s_waitcnt vmcnt(0)
	v_dual_mov_b32 v2, 0 :: v_dual_and_b32 v5, 0xffffff, v1
	s_waitcnt_vscnt null, 0x0
	global_store_b64 v[3:4], v[1:2], off
	v_readfirstlane_b32 m0, v5
	s_sendmsg sendmsg(MSG_INTERRUPT)
.LBB2_233:
	s_or_b32 exec_lo, exec_lo, s1
	s_branch .LBB2_237
	.p2align	6
.LBB2_234:                              ;   in Loop: Header=BB2_237 Depth=1
	s_or_b32 exec_lo, exec_lo, s1
	s_delay_alu instid0(VALU_DEP_1) | instskip(NEXT) | instid1(VALU_DEP_1)
	v_readfirstlane_b32 s1, v1
	s_cmp_eq_u32 s1, 0
	s_cbranch_scc1 .LBB2_236
; %bb.235:                              ;   in Loop: Header=BB2_237 Depth=1
	s_sleep 1
	s_cbranch_execnz .LBB2_237
	s_branch .LBB2_239
	.p2align	6
.LBB2_236:
	s_branch .LBB2_239
.LBB2_237:                              ; =>This Inner Loop Header: Depth=1
	v_mov_b32_e32 v1, 1
	s_and_saveexec_b32 s1, s0
	s_cbranch_execz .LBB2_234
; %bb.238:                              ;   in Loop: Header=BB2_237 Depth=1
	global_load_b32 v1, v[9:10], off offset:20 glc
	s_waitcnt vmcnt(0)
	buffer_gl1_inv
	buffer_gl0_inv
	v_and_b32_e32 v1, 1, v1
	s_branch .LBB2_234
.LBB2_239:
	global_load_b64 v[3:4], v[7:8], off
	s_and_saveexec_b32 s1, s0
	s_cbranch_execz .LBB2_243
; %bb.240:
	v_mov_b32_e32 v9, 0
	s_clause 0x2
	global_load_b64 v[1:2], v9, s[2:3] offset:40
	global_load_b64 v[10:11], v9, s[2:3] offset:24 glc
	global_load_b64 v[7:8], v9, s[2:3]
	s_waitcnt vmcnt(2)
	v_add_co_u32 v12, vcc_lo, v1, 1
	v_add_co_ci_u32_e32 v13, vcc_lo, 0, v2, vcc_lo
	s_delay_alu instid0(VALU_DEP_2) | instskip(NEXT) | instid1(VALU_DEP_2)
	v_add_co_u32 v5, vcc_lo, v12, s4
	v_add_co_ci_u32_e32 v6, vcc_lo, s5, v13, vcc_lo
	s_delay_alu instid0(VALU_DEP_1) | instskip(SKIP_1) | instid1(VALU_DEP_1)
	v_cmp_eq_u64_e32 vcc_lo, 0, v[5:6]
	v_dual_cndmask_b32 v6, v6, v13 :: v_dual_cndmask_b32 v5, v5, v12
	v_and_b32_e32 v2, v6, v2
	s_delay_alu instid0(VALU_DEP_2) | instskip(NEXT) | instid1(VALU_DEP_2)
	v_and_b32_e32 v1, v5, v1
	v_mul_lo_u32 v2, v2, 24
	s_delay_alu instid0(VALU_DEP_2) | instskip(SKIP_1) | instid1(VALU_DEP_2)
	v_mul_hi_u32 v12, v1, 24
	v_mul_lo_u32 v1, v1, 24
	v_add_nc_u32_e32 v2, v12, v2
	s_waitcnt vmcnt(0)
	s_delay_alu instid0(VALU_DEP_2) | instskip(SKIP_1) | instid1(VALU_DEP_3)
	v_add_co_u32 v1, vcc_lo, v7, v1
	v_mov_b32_e32 v7, v10
	v_add_co_ci_u32_e32 v2, vcc_lo, v8, v2, vcc_lo
	v_mov_b32_e32 v8, v11
	global_store_b64 v[1:2], v[10:11], off
	s_waitcnt_vscnt null, 0x0
	global_atomic_cmpswap_b64 v[7:8], v9, v[5:8], s[2:3] offset:24 glc
	s_waitcnt vmcnt(0)
	v_cmp_ne_u64_e32 vcc_lo, v[7:8], v[10:11]
	s_and_b32 exec_lo, exec_lo, vcc_lo
	s_cbranch_execz .LBB2_243
; %bb.241:
	s_mov_b32 s0, 0
.LBB2_242:                              ; =>This Inner Loop Header: Depth=1
	s_sleep 1
	global_store_b64 v[1:2], v[7:8], off
	s_waitcnt_vscnt null, 0x0
	global_atomic_cmpswap_b64 v[10:11], v9, v[5:8], s[2:3] offset:24 glc
	s_waitcnt vmcnt(0)
	v_cmp_eq_u64_e32 vcc_lo, v[10:11], v[7:8]
	v_dual_mov_b32 v7, v10 :: v_dual_mov_b32 v8, v11
	s_or_b32 s0, vcc_lo, s0
	s_delay_alu instid0(SALU_CYCLE_1)
	s_and_not1_b32 exec_lo, exec_lo, s0
	s_cbranch_execnz .LBB2_242
.LBB2_243:
	s_or_b32 exec_lo, exec_lo, s1
.LBB2_244:
	v_readfirstlane_b32 s0, v33
	s_waitcnt vmcnt(0)
	v_mov_b32_e32 v1, 0
	v_mov_b32_e32 v2, 0
	s_delay_alu instid0(VALU_DEP_3) | instskip(NEXT) | instid1(VALU_DEP_1)
	v_cmp_eq_u32_e64 s0, s0, v33
	s_and_saveexec_b32 s1, s0
	s_cbranch_execz .LBB2_250
; %bb.245:
	v_mov_b32_e32 v5, 0
	s_mov_b32 s4, exec_lo
	global_load_b64 v[8:9], v5, s[2:3] offset:24 glc
	s_waitcnt vmcnt(0)
	buffer_gl1_inv
	buffer_gl0_inv
	s_clause 0x1
	global_load_b64 v[1:2], v5, s[2:3] offset:40
	global_load_b64 v[6:7], v5, s[2:3]
	s_waitcnt vmcnt(1)
	v_and_b32_e32 v2, v2, v9
	v_and_b32_e32 v1, v1, v8
	s_delay_alu instid0(VALU_DEP_2) | instskip(NEXT) | instid1(VALU_DEP_2)
	v_mul_lo_u32 v2, v2, 24
	v_mul_hi_u32 v10, v1, 24
	v_mul_lo_u32 v1, v1, 24
	s_delay_alu instid0(VALU_DEP_2) | instskip(SKIP_1) | instid1(VALU_DEP_2)
	v_add_nc_u32_e32 v2, v10, v2
	s_waitcnt vmcnt(0)
	v_add_co_u32 v1, vcc_lo, v6, v1
	s_delay_alu instid0(VALU_DEP_2)
	v_add_co_ci_u32_e32 v2, vcc_lo, v7, v2, vcc_lo
	global_load_b64 v[6:7], v[1:2], off glc
	s_waitcnt vmcnt(0)
	global_atomic_cmpswap_b64 v[1:2], v5, v[6:9], s[2:3] offset:24 glc
	s_waitcnt vmcnt(0)
	buffer_gl1_inv
	buffer_gl0_inv
	v_cmpx_ne_u64_e64 v[1:2], v[8:9]
	s_cbranch_execz .LBB2_249
; %bb.246:
	s_mov_b32 s5, 0
	.p2align	6
.LBB2_247:                              ; =>This Inner Loop Header: Depth=1
	s_sleep 1
	s_clause 0x1
	global_load_b64 v[6:7], v5, s[2:3] offset:40
	global_load_b64 v[10:11], v5, s[2:3]
	v_dual_mov_b32 v9, v2 :: v_dual_mov_b32 v8, v1
	s_waitcnt vmcnt(1)
	s_delay_alu instid0(VALU_DEP_1) | instskip(SKIP_1) | instid1(VALU_DEP_1)
	v_and_b32_e32 v6, v6, v8
	s_waitcnt vmcnt(0)
	v_mad_u64_u32 v[1:2], null, v6, 24, v[10:11]
	v_and_b32_e32 v10, v7, v9
	s_delay_alu instid0(VALU_DEP_1) | instskip(NEXT) | instid1(VALU_DEP_1)
	v_mad_u64_u32 v[6:7], null, v10, 24, v[2:3]
	v_mov_b32_e32 v2, v6
	global_load_b64 v[6:7], v[1:2], off glc
	s_waitcnt vmcnt(0)
	global_atomic_cmpswap_b64 v[1:2], v5, v[6:9], s[2:3] offset:24 glc
	s_waitcnt vmcnt(0)
	buffer_gl1_inv
	buffer_gl0_inv
	v_cmp_eq_u64_e32 vcc_lo, v[1:2], v[8:9]
	s_or_b32 s5, vcc_lo, s5
	s_delay_alu instid0(SALU_CYCLE_1)
	s_and_not1_b32 exec_lo, exec_lo, s5
	s_cbranch_execnz .LBB2_247
; %bb.248:
	s_or_b32 exec_lo, exec_lo, s5
.LBB2_249:
	s_delay_alu instid0(SALU_CYCLE_1)
	s_or_b32 exec_lo, exec_lo, s4
.LBB2_250:
	s_delay_alu instid0(SALU_CYCLE_1)
	s_or_b32 exec_lo, exec_lo, s1
	v_mov_b32_e32 v6, 0
	v_readfirstlane_b32 s4, v1
	v_readfirstlane_b32 s5, v2
	s_mov_b32 s1, exec_lo
	s_clause 0x1
	global_load_b64 v[11:12], v6, s[2:3] offset:40
	global_load_b128 v[7:10], v6, s[2:3]
	s_waitcnt vmcnt(1)
	v_readfirstlane_b32 s6, v11
	v_readfirstlane_b32 s7, v12
	s_delay_alu instid0(VALU_DEP_1) | instskip(NEXT) | instid1(SALU_CYCLE_1)
	s_and_b64 s[6:7], s[4:5], s[6:7]
	s_mul_i32 s10, s7, 24
	s_mul_hi_u32 s11, s6, 24
	s_mul_i32 s12, s6, 24
	s_add_i32 s11, s11, s10
	s_waitcnt vmcnt(0)
	v_add_co_u32 v11, vcc_lo, v7, s12
	v_add_co_ci_u32_e32 v12, vcc_lo, s11, v8, vcc_lo
	s_and_saveexec_b32 s10, s0
	s_cbranch_execz .LBB2_252
; %bb.251:
	v_dual_mov_b32 v5, s1 :: v_dual_mov_b32 v16, 1
	v_dual_mov_b32 v15, 2 :: v_dual_mov_b32 v14, v6
	s_delay_alu instid0(VALU_DEP_2)
	v_mov_b32_e32 v13, v5
	global_store_b128 v[11:12], v[13:16], off offset:8
.LBB2_252:
	s_or_b32 exec_lo, exec_lo, s10
	s_lshl_b64 s[6:7], s[6:7], 12
	s_mov_b32 s12, 0
	v_add_co_u32 v1, vcc_lo, v9, s6
	v_add_co_ci_u32_e32 v2, vcc_lo, s7, v10, vcc_lo
	s_mov_b32 s15, s12
	s_delay_alu instid0(VALU_DEP_2)
	v_add_co_u32 v9, vcc_lo, v1, v32
	s_mov_b32 s13, s12
	s_mov_b32 s14, s12
	v_and_or_b32 v3, 0xffffff1f, v3, 32
	v_dual_mov_b32 v5, v0 :: v_dual_mov_b32 v16, s15
	v_readfirstlane_b32 s6, v1
	v_readfirstlane_b32 s7, v2
	v_add_co_ci_u32_e32 v10, vcc_lo, 0, v2, vcc_lo
	v_dual_mov_b32 v15, s14 :: v_dual_mov_b32 v14, s13
	v_mov_b32_e32 v13, s12
	s_clause 0x3
	global_store_b128 v32, v[3:6], s[6:7]
	global_store_b128 v32, v[13:16], s[6:7] offset:16
	global_store_b128 v32, v[13:16], s[6:7] offset:32
	global_store_b128 v32, v[13:16], s[6:7] offset:48
	s_and_saveexec_b32 s1, s0
	s_cbranch_execz .LBB2_260
; %bb.253:
	v_dual_mov_b32 v6, 0 :: v_dual_mov_b32 v13, s4
	v_mov_b32_e32 v14, s5
	s_clause 0x1
	global_load_b64 v[15:16], v6, s[2:3] offset:32 glc
	global_load_b64 v[0:1], v6, s[2:3] offset:40
	s_waitcnt vmcnt(0)
	v_readfirstlane_b32 s6, v0
	v_readfirstlane_b32 s7, v1
	s_delay_alu instid0(VALU_DEP_1) | instskip(NEXT) | instid1(SALU_CYCLE_1)
	s_and_b64 s[6:7], s[6:7], s[4:5]
	s_mul_i32 s7, s7, 24
	s_mul_hi_u32 s10, s6, 24
	s_mul_i32 s6, s6, 24
	s_add_i32 s10, s10, s7
	v_add_co_u32 v4, vcc_lo, v7, s6
	v_add_co_ci_u32_e32 v5, vcc_lo, s10, v8, vcc_lo
	s_mov_b32 s6, exec_lo
	global_store_b64 v[4:5], v[15:16], off
	s_waitcnt_vscnt null, 0x0
	global_atomic_cmpswap_b64 v[2:3], v6, v[13:16], s[2:3] offset:32 glc
	s_waitcnt vmcnt(0)
	v_cmpx_ne_u64_e64 v[2:3], v[15:16]
	s_cbranch_execz .LBB2_256
; %bb.254:
	s_mov_b32 s7, 0
.LBB2_255:                              ; =>This Inner Loop Header: Depth=1
	v_dual_mov_b32 v0, s4 :: v_dual_mov_b32 v1, s5
	s_sleep 1
	global_store_b64 v[4:5], v[2:3], off
	s_waitcnt_vscnt null, 0x0
	global_atomic_cmpswap_b64 v[0:1], v6, v[0:3], s[2:3] offset:32 glc
	s_waitcnt vmcnt(0)
	v_cmp_eq_u64_e32 vcc_lo, v[0:1], v[2:3]
	v_dual_mov_b32 v3, v1 :: v_dual_mov_b32 v2, v0
	s_or_b32 s7, vcc_lo, s7
	s_delay_alu instid0(SALU_CYCLE_1)
	s_and_not1_b32 exec_lo, exec_lo, s7
	s_cbranch_execnz .LBB2_255
.LBB2_256:
	s_or_b32 exec_lo, exec_lo, s6
	v_mov_b32_e32 v3, 0
	s_mov_b32 s7, exec_lo
	s_mov_b32 s6, exec_lo
	v_mbcnt_lo_u32_b32 v2, s7, 0
	global_load_b64 v[0:1], v3, s[2:3] offset:16
	v_cmpx_eq_u32_e32 0, v2
	s_cbranch_execz .LBB2_258
; %bb.257:
	s_bcnt1_i32_b32 s7, s7
	s_delay_alu instid0(SALU_CYCLE_1)
	v_mov_b32_e32 v2, s7
	s_waitcnt vmcnt(0)
	global_atomic_add_u64 v[0:1], v[2:3], off offset:8
.LBB2_258:
	s_or_b32 exec_lo, exec_lo, s6
	s_waitcnt vmcnt(0)
	global_load_b64 v[2:3], v[0:1], off offset:16
	s_waitcnt vmcnt(0)
	v_cmp_eq_u64_e32 vcc_lo, 0, v[2:3]
	s_cbranch_vccnz .LBB2_260
; %bb.259:
	global_load_b32 v0, v[0:1], off offset:24
	s_waitcnt vmcnt(0)
	v_dual_mov_b32 v1, 0 :: v_dual_and_b32 v4, 0xffffff, v0
	s_waitcnt_vscnt null, 0x0
	global_store_b64 v[2:3], v[0:1], off
	v_readfirstlane_b32 m0, v4
	s_sendmsg sendmsg(MSG_INTERRUPT)
.LBB2_260:
	s_or_b32 exec_lo, exec_lo, s1
	s_branch .LBB2_264
	.p2align	6
.LBB2_261:                              ;   in Loop: Header=BB2_264 Depth=1
	s_or_b32 exec_lo, exec_lo, s1
	s_delay_alu instid0(VALU_DEP_1) | instskip(NEXT) | instid1(VALU_DEP_1)
	v_readfirstlane_b32 s1, v0
	s_cmp_eq_u32 s1, 0
	s_cbranch_scc1 .LBB2_263
; %bb.262:                              ;   in Loop: Header=BB2_264 Depth=1
	s_sleep 1
	s_cbranch_execnz .LBB2_264
	s_branch .LBB2_266
	.p2align	6
.LBB2_263:
	s_branch .LBB2_266
.LBB2_264:                              ; =>This Inner Loop Header: Depth=1
	v_mov_b32_e32 v0, 1
	s_and_saveexec_b32 s1, s0
	s_cbranch_execz .LBB2_261
; %bb.265:                              ;   in Loop: Header=BB2_264 Depth=1
	global_load_b32 v0, v[11:12], off offset:20 glc
	s_waitcnt vmcnt(0)
	buffer_gl1_inv
	buffer_gl0_inv
	v_and_b32_e32 v0, 1, v0
	s_branch .LBB2_261
.LBB2_266:
	global_load_b64 v[0:1], v[9:10], off
	s_and_saveexec_b32 s1, s0
	s_cbranch_execz .LBB2_270
; %bb.267:
	v_mov_b32_e32 v8, 0
	s_clause 0x2
	global_load_b64 v[4:5], v8, s[2:3] offset:40
	global_load_b64 v[9:10], v8, s[2:3] offset:24 glc
	global_load_b64 v[6:7], v8, s[2:3]
	s_waitcnt vmcnt(2)
	v_add_co_u32 v11, vcc_lo, v4, 1
	v_add_co_ci_u32_e32 v12, vcc_lo, 0, v5, vcc_lo
	s_delay_alu instid0(VALU_DEP_2) | instskip(NEXT) | instid1(VALU_DEP_2)
	v_add_co_u32 v2, vcc_lo, v11, s4
	v_add_co_ci_u32_e32 v3, vcc_lo, s5, v12, vcc_lo
	s_delay_alu instid0(VALU_DEP_1) | instskip(SKIP_1) | instid1(VALU_DEP_1)
	v_cmp_eq_u64_e32 vcc_lo, 0, v[2:3]
	v_dual_cndmask_b32 v3, v3, v12 :: v_dual_cndmask_b32 v2, v2, v11
	v_and_b32_e32 v5, v3, v5
	s_delay_alu instid0(VALU_DEP_2) | instskip(NEXT) | instid1(VALU_DEP_2)
	v_and_b32_e32 v4, v2, v4
	v_mul_lo_u32 v5, v5, 24
	s_delay_alu instid0(VALU_DEP_2) | instskip(SKIP_1) | instid1(VALU_DEP_2)
	v_mul_hi_u32 v11, v4, 24
	v_mul_lo_u32 v4, v4, 24
	v_add_nc_u32_e32 v5, v11, v5
	s_waitcnt vmcnt(0)
	s_delay_alu instid0(VALU_DEP_2) | instskip(SKIP_1) | instid1(VALU_DEP_3)
	v_add_co_u32 v6, vcc_lo, v6, v4
	v_mov_b32_e32 v4, v9
	v_add_co_ci_u32_e32 v7, vcc_lo, v7, v5, vcc_lo
	v_mov_b32_e32 v5, v10
	global_store_b64 v[6:7], v[9:10], off
	s_waitcnt_vscnt null, 0x0
	global_atomic_cmpswap_b64 v[4:5], v8, v[2:5], s[2:3] offset:24 glc
	s_waitcnt vmcnt(0)
	v_cmp_ne_u64_e32 vcc_lo, v[4:5], v[9:10]
	s_and_b32 exec_lo, exec_lo, vcc_lo
	s_cbranch_execz .LBB2_270
; %bb.268:
	s_mov_b32 s0, 0
.LBB2_269:                              ; =>This Inner Loop Header: Depth=1
	s_sleep 1
	global_store_b64 v[6:7], v[4:5], off
	s_waitcnt_vscnt null, 0x0
	global_atomic_cmpswap_b64 v[9:10], v8, v[2:5], s[2:3] offset:24 glc
	s_waitcnt vmcnt(0)
	v_cmp_eq_u64_e32 vcc_lo, v[9:10], v[4:5]
	v_dual_mov_b32 v4, v9 :: v_dual_mov_b32 v5, v10
	s_or_b32 s0, vcc_lo, s0
	s_delay_alu instid0(SALU_CYCLE_1)
	s_and_not1_b32 exec_lo, exec_lo, s0
	s_cbranch_execnz .LBB2_269
.LBB2_270:
	s_or_b32 exec_lo, exec_lo, s1
	s_getpc_b64 s[0:1]
	s_add_u32 s0, s0, __FUNCTION__._ZL18flash_attn_ext_f16ILi64ELi64ELi64ELi1ELb0ELb0EEvPKcS1_S1_S1_S1_PKiPfP15HIP_vector_typeIfLj2EEffffjfiS5_IjLj3EEiiiiiiiiiiiliiliiiiil@rel32@lo+4
	s_addc_u32 s1, s1, __FUNCTION__._ZL18flash_attn_ext_f16ILi64ELi64ELi64ELi1ELb0ELb0EEvPKcS1_S1_S1_S1_PKiPfP15HIP_vector_typeIfLj2EEffffjfiS5_IjLj3EEiiiiiiiiiiiliiliiiiil@rel32@hi+12
	s_delay_alu instid0(SALU_CYCLE_1) | instskip(SKIP_3) | instid1(SALU_CYCLE_1)
	v_dual_mov_b32 v2, s0 :: v_dual_mov_b32 v3, s1
	s_cmp_lg_u64 s[0:1], 0
	s_mov_b64 s[16:17], s[8:9]
	s_cselect_b32 s4, 19, 0
	v_dual_mov_b32 v5, 0 :: v_dual_mov_b32 v4, s4
	s_getpc_b64 s[2:3]
	s_add_u32 s2, s2, __ockl_printf_append_string_n@rel32@lo+4
	s_addc_u32 s3, s3, __ockl_printf_append_string_n@rel32@hi+12
	s_delay_alu instid0(SALU_CYCLE_1)
	s_swappc_b64 s[30:31], s[2:3]
	v_dual_mov_b32 v2, 0x514 :: v_dual_mov_b32 v3, 0
	v_mov_b32_e32 v4, 1
	s_mov_b64 s[8:9], s[16:17]
	s_getpc_b64 s[0:1]
	s_add_u32 s0, s0, __ockl_printf_append_args@rel32@lo+4
	s_addc_u32 s1, s1, __ockl_printf_append_args@rel32@hi+12
	s_delay_alu instid0(SALU_CYCLE_1)
	s_swappc_b64 s[30:31], s[0:1]
	s_trap 2
	s_sendmsg_rtn_b32 s0, sendmsg(MSG_RTN_GET_DOORBELL)
	s_mov_b32 ttmp2, m0
	s_waitcnt lgkmcnt(0)
	s_and_b32 s0, s0, 0x3ff
	s_delay_alu instid0(SALU_CYCLE_1) | instskip(NEXT) | instid1(SALU_CYCLE_1)
	s_bitset1_b32 s0, 10
	s_mov_b32 m0, s0
	s_sendmsg sendmsg(MSG_INTERRUPT)
	s_mov_b32 m0, ttmp2
.LBB2_271:                              ; =>This Inner Loop Header: Depth=1
	s_sethalt 5
	s_branch .LBB2_271
.Lfunc_end2:
	.size	_ZL14no_device_codePKciS0_iS0_, .Lfunc_end2-_ZL14no_device_codePKciS0_iS0_
                                        ; -- End function
	.section	.AMDGPU.csdata,"",@progbits
; Function info:
; codeLenInByte = 10540
; NumSgprs: 36
; NumVgprs: 37
; ScratchSize: 16
; MemoryBound: 0
	.section	.text._ZL18flash_attn_ext_f16ILi64ELi64ELi64ELi1ELb0ELb0EEvPKcS1_S1_S1_S1_PKiPfP15HIP_vector_typeIfLj2EEffffjfiS5_IjLj3EEiiiiiiiiiiiliiliiiiil,"axG",@progbits,_ZL18flash_attn_ext_f16ILi64ELi64ELi64ELi1ELb0ELb0EEvPKcS1_S1_S1_S1_PKiPfP15HIP_vector_typeIfLj2EEffffjfiS5_IjLj3EEiiiiiiiiiiiliiliiiiil,comdat
	.globl	_ZL18flash_attn_ext_f16ILi64ELi64ELi64ELi1ELb0ELb0EEvPKcS1_S1_S1_S1_PKiPfP15HIP_vector_typeIfLj2EEffffjfiS5_IjLj3EEiiiiiiiiiiiliiliiiiil ; -- Begin function _ZL18flash_attn_ext_f16ILi64ELi64ELi64ELi1ELb0ELb0EEvPKcS1_S1_S1_S1_PKiPfP15HIP_vector_typeIfLj2EEffffjfiS5_IjLj3EEiiiiiiiiiiiliiliiiiil
	.p2align	8
	.type	_ZL18flash_attn_ext_f16ILi64ELi64ELi64ELi1ELb0ELb0EEvPKcS1_S1_S1_S1_PKiPfP15HIP_vector_typeIfLj2EEffffjfiS5_IjLj3EEiiiiiiiiiiiliiliiiiil,@function
_ZL18flash_attn_ext_f16ILi64ELi64ELi64ELi1ELb0ELb0EEvPKcS1_S1_S1_S1_PKiPfP15HIP_vector_typeIfLj2EEffffjfiS5_IjLj3EEiiiiiiiiiiiliiliiiiil: ; @_ZL18flash_attn_ext_f16ILi64ELi64ELi64ELi1ELb0ELb0EEvPKcS1_S1_S1_S1_PKiPfP15HIP_vector_typeIfLj2EEffffjfiS5_IjLj3EEiiiiiiiiiiiliiliiiiil
; %bb.0:
	v_mov_b32_e32 v0, 0x6e3
	s_add_u32 s8, s0, 0xd0
	s_addc_u32 s9, s1, 0
	s_mov_b32 s32, 0
	s_getpc_b64 s[0:1]
	s_add_u32 s0, s0, _ZL14no_device_codePKciS0_iS0_@rel32@lo+4
	s_addc_u32 s1, s1, _ZL14no_device_codePKciS0_iS0_@rel32@hi+12
	s_delay_alu instid0(SALU_CYCLE_1)
	s_swappc_b64 s[30:31], s[0:1]
	.section	.rodata,"a",@progbits
	.p2align	6, 0x0
	.amdhsa_kernel _ZL18flash_attn_ext_f16ILi64ELi64ELi64ELi1ELb0ELb0EEvPKcS1_S1_S1_S1_PKiPfP15HIP_vector_typeIfLj2EEffffjfiS5_IjLj3EEiiiiiiiiiiiliiliiiiil
		.amdhsa_group_segment_fixed_size 0
		.amdhsa_private_segment_fixed_size 16
		.amdhsa_kernarg_size 464
		.amdhsa_user_sgpr_count 15
		.amdhsa_user_sgpr_dispatch_ptr 0
		.amdhsa_user_sgpr_queue_ptr 0
		.amdhsa_user_sgpr_kernarg_segment_ptr 1
		.amdhsa_user_sgpr_dispatch_id 0
		.amdhsa_user_sgpr_private_segment_size 0
		.amdhsa_wavefront_size32 1
		.amdhsa_uses_dynamic_stack 0
		.amdhsa_enable_private_segment 1
		.amdhsa_system_sgpr_workgroup_id_x 1
		.amdhsa_system_sgpr_workgroup_id_y 0
		.amdhsa_system_sgpr_workgroup_id_z 0
		.amdhsa_system_sgpr_workgroup_info 0
		.amdhsa_system_vgpr_workitem_id 0
		.amdhsa_next_free_vgpr 37
		.amdhsa_next_free_sgpr 34
		.amdhsa_reserve_vcc 1
		.amdhsa_float_round_mode_32 0
		.amdhsa_float_round_mode_16_64 0
		.amdhsa_float_denorm_mode_32 3
		.amdhsa_float_denorm_mode_16_64 3
		.amdhsa_dx10_clamp 1
		.amdhsa_ieee_mode 1
		.amdhsa_fp16_overflow 0
		.amdhsa_workgroup_processor_mode 1
		.amdhsa_memory_ordered 1
		.amdhsa_forward_progress 0
		.amdhsa_shared_vgpr_count 0
		.amdhsa_exception_fp_ieee_invalid_op 0
		.amdhsa_exception_fp_denorm_src 0
		.amdhsa_exception_fp_ieee_div_zero 0
		.amdhsa_exception_fp_ieee_overflow 0
		.amdhsa_exception_fp_ieee_underflow 0
		.amdhsa_exception_fp_ieee_inexact 0
		.amdhsa_exception_int_div_zero 0
	.end_amdhsa_kernel
	.section	.text._ZL18flash_attn_ext_f16ILi64ELi64ELi64ELi1ELb0ELb0EEvPKcS1_S1_S1_S1_PKiPfP15HIP_vector_typeIfLj2EEffffjfiS5_IjLj3EEiiiiiiiiiiiliiliiiiil,"axG",@progbits,_ZL18flash_attn_ext_f16ILi64ELi64ELi64ELi1ELb0ELb0EEvPKcS1_S1_S1_S1_PKiPfP15HIP_vector_typeIfLj2EEffffjfiS5_IjLj3EEiiiiiiiiiiiliiliiiiil,comdat
.Lfunc_end3:
	.size	_ZL18flash_attn_ext_f16ILi64ELi64ELi64ELi1ELb0ELb0EEvPKcS1_S1_S1_S1_PKiPfP15HIP_vector_typeIfLj2EEffffjfiS5_IjLj3EEiiiiiiiiiiiliiliiiiil, .Lfunc_end3-_ZL18flash_attn_ext_f16ILi64ELi64ELi64ELi1ELb0ELb0EEvPKcS1_S1_S1_S1_PKiPfP15HIP_vector_typeIfLj2EEffffjfiS5_IjLj3EEiiiiiiiiiiiliiliiiiil
                                        ; -- End function
	.section	.AMDGPU.csdata,"",@progbits
; Kernel info:
; codeLenInByte = 52
; NumSgprs: 36
; NumVgprs: 37
; ScratchSize: 16
; MemoryBound: 0
; FloatMode: 240
; IeeeMode: 1
; LDSByteSize: 0 bytes/workgroup (compile time only)
; SGPRBlocks: 4
; VGPRBlocks: 4
; NumSGPRsForWavesPerEU: 36
; NumVGPRsForWavesPerEU: 37
; Occupancy: 16
; WaveLimiterHint : 1
; COMPUTE_PGM_RSRC2:SCRATCH_EN: 1
; COMPUTE_PGM_RSRC2:USER_SGPR: 15
; COMPUTE_PGM_RSRC2:TRAP_HANDLER: 0
; COMPUTE_PGM_RSRC2:TGID_X_EN: 1
; COMPUTE_PGM_RSRC2:TGID_Y_EN: 0
; COMPUTE_PGM_RSRC2:TGID_Z_EN: 0
; COMPUTE_PGM_RSRC2:TIDIG_COMP_CNT: 0
	.section	.text._ZL18flash_attn_ext_f16ILi64ELi64ELi64ELi1ELb1ELb0EEvPKcS1_S1_S1_S1_PKiPfP15HIP_vector_typeIfLj2EEffffjfiS5_IjLj3EEiiiiiiiiiiiliiliiiiil,"axG",@progbits,_ZL18flash_attn_ext_f16ILi64ELi64ELi64ELi1ELb1ELb0EEvPKcS1_S1_S1_S1_PKiPfP15HIP_vector_typeIfLj2EEffffjfiS5_IjLj3EEiiiiiiiiiiiliiliiiiil,comdat
	.globl	_ZL18flash_attn_ext_f16ILi64ELi64ELi64ELi1ELb1ELb0EEvPKcS1_S1_S1_S1_PKiPfP15HIP_vector_typeIfLj2EEffffjfiS5_IjLj3EEiiiiiiiiiiiliiliiiiil ; -- Begin function _ZL18flash_attn_ext_f16ILi64ELi64ELi64ELi1ELb1ELb0EEvPKcS1_S1_S1_S1_PKiPfP15HIP_vector_typeIfLj2EEffffjfiS5_IjLj3EEiiiiiiiiiiiliiliiiiil
	.p2align	8
	.type	_ZL18flash_attn_ext_f16ILi64ELi64ELi64ELi1ELb1ELb0EEvPKcS1_S1_S1_S1_PKiPfP15HIP_vector_typeIfLj2EEffffjfiS5_IjLj3EEiiiiiiiiiiiliiliiiiil,@function
_ZL18flash_attn_ext_f16ILi64ELi64ELi64ELi1ELb1ELb0EEvPKcS1_S1_S1_S1_PKiPfP15HIP_vector_typeIfLj2EEffffjfiS5_IjLj3EEiiiiiiiiiiiliiliiiiil: ; @_ZL18flash_attn_ext_f16ILi64ELi64ELi64ELi1ELb1ELb0EEvPKcS1_S1_S1_S1_PKiPfP15HIP_vector_typeIfLj2EEffffjfiS5_IjLj3EEiiiiiiiiiiiliiliiiiil
; %bb.0:
	v_mov_b32_e32 v0, 0x6cc
	s_add_u32 s8, s0, 0xd0
	s_addc_u32 s9, s1, 0
	s_mov_b32 s32, 0
	s_getpc_b64 s[0:1]
	s_add_u32 s0, s0, _ZL14no_device_codePKciS0_iS0_@rel32@lo+4
	s_addc_u32 s1, s1, _ZL14no_device_codePKciS0_iS0_@rel32@hi+12
	s_delay_alu instid0(SALU_CYCLE_1)
	s_swappc_b64 s[30:31], s[0:1]
	.section	.rodata,"a",@progbits
	.p2align	6, 0x0
	.amdhsa_kernel _ZL18flash_attn_ext_f16ILi64ELi64ELi64ELi1ELb1ELb0EEvPKcS1_S1_S1_S1_PKiPfP15HIP_vector_typeIfLj2EEffffjfiS5_IjLj3EEiiiiiiiiiiiliiliiiiil
		.amdhsa_group_segment_fixed_size 0
		.amdhsa_private_segment_fixed_size 16
		.amdhsa_kernarg_size 464
		.amdhsa_user_sgpr_count 15
		.amdhsa_user_sgpr_dispatch_ptr 0
		.amdhsa_user_sgpr_queue_ptr 0
		.amdhsa_user_sgpr_kernarg_segment_ptr 1
		.amdhsa_user_sgpr_dispatch_id 0
		.amdhsa_user_sgpr_private_segment_size 0
		.amdhsa_wavefront_size32 1
		.amdhsa_uses_dynamic_stack 0
		.amdhsa_enable_private_segment 1
		.amdhsa_system_sgpr_workgroup_id_x 1
		.amdhsa_system_sgpr_workgroup_id_y 0
		.amdhsa_system_sgpr_workgroup_id_z 0
		.amdhsa_system_sgpr_workgroup_info 0
		.amdhsa_system_vgpr_workitem_id 0
		.amdhsa_next_free_vgpr 37
		.amdhsa_next_free_sgpr 34
		.amdhsa_reserve_vcc 1
		.amdhsa_float_round_mode_32 0
		.amdhsa_float_round_mode_16_64 0
		.amdhsa_float_denorm_mode_32 3
		.amdhsa_float_denorm_mode_16_64 3
		.amdhsa_dx10_clamp 1
		.amdhsa_ieee_mode 1
		.amdhsa_fp16_overflow 0
		.amdhsa_workgroup_processor_mode 1
		.amdhsa_memory_ordered 1
		.amdhsa_forward_progress 0
		.amdhsa_shared_vgpr_count 0
		.amdhsa_exception_fp_ieee_invalid_op 0
		.amdhsa_exception_fp_denorm_src 0
		.amdhsa_exception_fp_ieee_div_zero 0
		.amdhsa_exception_fp_ieee_overflow 0
		.amdhsa_exception_fp_ieee_underflow 0
		.amdhsa_exception_fp_ieee_inexact 0
		.amdhsa_exception_int_div_zero 0
	.end_amdhsa_kernel
	.section	.text._ZL18flash_attn_ext_f16ILi64ELi64ELi64ELi1ELb1ELb0EEvPKcS1_S1_S1_S1_PKiPfP15HIP_vector_typeIfLj2EEffffjfiS5_IjLj3EEiiiiiiiiiiiliiliiiiil,"axG",@progbits,_ZL18flash_attn_ext_f16ILi64ELi64ELi64ELi1ELb1ELb0EEvPKcS1_S1_S1_S1_PKiPfP15HIP_vector_typeIfLj2EEffffjfiS5_IjLj3EEiiiiiiiiiiiliiliiiiil,comdat
.Lfunc_end4:
	.size	_ZL18flash_attn_ext_f16ILi64ELi64ELi64ELi1ELb1ELb0EEvPKcS1_S1_S1_S1_PKiPfP15HIP_vector_typeIfLj2EEffffjfiS5_IjLj3EEiiiiiiiiiiiliiliiiiil, .Lfunc_end4-_ZL18flash_attn_ext_f16ILi64ELi64ELi64ELi1ELb1ELb0EEvPKcS1_S1_S1_S1_PKiPfP15HIP_vector_typeIfLj2EEffffjfiS5_IjLj3EEiiiiiiiiiiiliiliiiiil
                                        ; -- End function
	.section	.AMDGPU.csdata,"",@progbits
; Kernel info:
; codeLenInByte = 52
; NumSgprs: 36
; NumVgprs: 37
; ScratchSize: 16
; MemoryBound: 0
; FloatMode: 240
; IeeeMode: 1
; LDSByteSize: 0 bytes/workgroup (compile time only)
; SGPRBlocks: 4
; VGPRBlocks: 4
; NumSGPRsForWavesPerEU: 36
; NumVGPRsForWavesPerEU: 37
; Occupancy: 16
; WaveLimiterHint : 1
; COMPUTE_PGM_RSRC2:SCRATCH_EN: 1
; COMPUTE_PGM_RSRC2:USER_SGPR: 15
; COMPUTE_PGM_RSRC2:TRAP_HANDLER: 0
; COMPUTE_PGM_RSRC2:TGID_X_EN: 1
; COMPUTE_PGM_RSRC2:TGID_Y_EN: 0
; COMPUTE_PGM_RSRC2:TGID_Z_EN: 0
; COMPUTE_PGM_RSRC2:TIDIG_COMP_CNT: 0
	.section	.text._ZL25flash_attn_mask_to_KV_maxILi64EEvPK7__half2Piiii,"axG",@progbits,_ZL25flash_attn_mask_to_KV_maxILi64EEvPK7__half2Piiii,comdat
	.globl	_ZL25flash_attn_mask_to_KV_maxILi64EEvPK7__half2Piiii ; -- Begin function _ZL25flash_attn_mask_to_KV_maxILi64EEvPK7__half2Piiii
	.p2align	8
	.type	_ZL25flash_attn_mask_to_KV_maxILi64EEvPK7__half2Piiii,@function
_ZL25flash_attn_mask_to_KV_maxILi64EEvPK7__half2Piiii: ; @_ZL25flash_attn_mask_to_KV_maxILi64EEvPK7__half2Piiii
; %bb.0:
	s_load_b128 s[4:7], s[0:1], 0x0
	s_mov_b32 s2, exec_lo
	v_cmpx_gt_u32_e32 32, v0
	s_cbranch_execz .LBB5_2
; %bb.1:
	v_dual_mov_b32 v2, 1 :: v_dual_lshlrev_b32 v1, 2, v0
	ds_store_b32 v1, v2
.LBB5_2:
	s_or_b32 exec_lo, exec_lo, s2
	s_clause 0x1
	s_load_b128 s[8:11], s[0:1], 0x10
	s_load_b32 s1, s[0:1], 0x20
	v_dual_mov_b32 v2, 0 :: v_dual_and_b32 v1, 31, v0
	v_lshrrev_b32_e32 v5, 3, v0
	s_waitcnt lgkmcnt(0)
	s_barrier
	s_delay_alu instid0(VALU_DEP_2) | instskip(SKIP_4) | instid1(SALU_CYCLE_1)
	v_lshlrev_b32_e32 v6, 2, v1
	buffer_gl0_inv
	s_mul_i32 s0, s14, s9
	s_mul_i32 s2, s15, s10
	s_lshl_b32 s0, s0, 6
	s_add_i32 s2, s2, s0
	v_cmp_eq_u32_e64 s0, 0, v1
	s_ashr_i32 s3, s2, 31
	s_delay_alu instid0(SALU_CYCLE_1) | instskip(NEXT) | instid1(SALU_CYCLE_1)
	s_lshl_b64 s[10:11], s[2:3], 2
	s_add_u32 s3, s4, s10
	s_addc_u32 s4, s5, s11
	s_lshl_b32 s5, s8, 8
	s_branch .LBB5_4
.LBB5_3:                                ;   in Loop: Header=BB5_4 Depth=1
	s_or_b32 exec_lo, exec_lo, s10
	s_waitcnt lgkmcnt(0)
	s_barrier
	buffer_gl0_inv
	ds_load_b32 v1, v6
	s_waitcnt lgkmcnt(0)
	s_barrier
	buffer_gl0_inv
	;;#ASMSTART
	;;#ASMEND
	v_cmp_ne_u32_e32 vcc_lo, 0, v1
	s_cmp_lg_u32 vcc_lo, exec_lo
	s_cselect_b32 s8, -1, 0
	s_delay_alu instid0(SALU_CYCLE_1)
	s_and_b32 vcc_lo, exec_lo, s8
	s_cbranch_vccnz .LBB5_260
.LBB5_4:                                ; =>This Inner Loop Header: Depth=1
	s_mov_b32 s2, s5
	s_addk_i32 s5, 0xff00
	s_delay_alu instid0(SALU_CYCLE_1)
	s_cmp_lt_i32 s5, 0
	s_cbranch_scc1 .LBB5_259
; %bb.5:                                ;   in Loop: Header=BB5_4 Depth=1
	s_lshr_b32 s8, s5, 1
	s_mov_b32 s10, 0
	v_add_nc_u32_e32 v1, s8, v0
	s_delay_alu instid0(VALU_DEP_1) | instskip(NEXT) | instid1(VALU_DEP_1)
	v_lshlrev_b64 v[3:4], 2, v[1:2]
	v_add_co_u32 v3, vcc_lo, s3, v3
	s_delay_alu instid0(VALU_DEP_2) | instskip(SKIP_4) | instid1(VALU_DEP_2)
	v_add_co_ci_u32_e32 v4, vcc_lo, s4, v4, vcc_lo
	global_load_b32 v3, v[3:4], off
	s_waitcnt vmcnt(0)
	v_lshrrev_b32_e32 v4, 16, v3
	v_cmp_class_f16_e64 s8, v3, 0x204
	v_and_b32_e32 v4, 0x7fff, v4
	s_delay_alu instid0(VALU_DEP_1) | instskip(NEXT) | instid1(VALU_DEP_3)
	v_cmp_eq_f16_e32 vcc_lo, 0x7c00, v4
	s_and_b32 s11, s8, vcc_lo
	s_delay_alu instid0(SALU_CYCLE_1)
	s_and_saveexec_b32 s8, s11
	s_cbranch_execz .LBB5_257
; %bb.6:                                ;   in Loop: Header=BB5_4 Depth=1
	v_add_nc_u32_e32 v3, s9, v1
	s_mov_b32 s11, 0
	s_delay_alu instid0(VALU_DEP_1) | instskip(NEXT) | instid1(VALU_DEP_1)
	v_ashrrev_i32_e32 v4, 31, v3
	v_lshlrev_b64 v[7:8], 2, v[3:4]
	s_delay_alu instid0(VALU_DEP_1) | instskip(NEXT) | instid1(VALU_DEP_2)
	v_add_co_u32 v7, vcc_lo, s3, v7
	v_add_co_ci_u32_e32 v8, vcc_lo, s4, v8, vcc_lo
	global_load_b32 v1, v[7:8], off
	s_waitcnt vmcnt(0)
	v_cmp_class_f16_e64 s12, v1, 0x204
	s_delay_alu instid0(VALU_DEP_1)
	s_and_saveexec_b32 s10, s12
	s_cbranch_execz .LBB5_256
; %bb.7:                                ;   in Loop: Header=BB5_4 Depth=1
	v_lshrrev_b32_e32 v1, 16, v1
	s_mov_b32 s12, 0
	s_delay_alu instid0(VALU_DEP_1) | instskip(NEXT) | instid1(VALU_DEP_1)
	v_cmp_class_f16_e64 s13, v1, 0x204
	s_and_saveexec_b32 s11, s13
	s_cbranch_execz .LBB5_255
; %bb.8:                                ;   in Loop: Header=BB5_4 Depth=1
	v_add_nc_u32_e32 v3, s9, v3
	s_mov_b32 s13, 0
	s_delay_alu instid0(VALU_DEP_1) | instskip(NEXT) | instid1(VALU_DEP_1)
	v_ashrrev_i32_e32 v4, 31, v3
	v_lshlrev_b64 v[7:8], 2, v[3:4]
	s_delay_alu instid0(VALU_DEP_1) | instskip(NEXT) | instid1(VALU_DEP_2)
	v_add_co_u32 v7, vcc_lo, s3, v7
	v_add_co_ci_u32_e32 v8, vcc_lo, s4, v8, vcc_lo
	global_load_b32 v1, v[7:8], off
	s_waitcnt vmcnt(0)
	v_cmp_class_f16_e64 s16, v1, 0x204
	s_delay_alu instid0(VALU_DEP_1)
	s_and_saveexec_b32 s12, s16
	s_cbranch_execz .LBB5_254
; %bb.9:                                ;   in Loop: Header=BB5_4 Depth=1
	v_lshrrev_b32_e32 v1, 16, v1
	s_mov_b32 s16, 0
	s_delay_alu instid0(VALU_DEP_1) | instskip(NEXT) | instid1(VALU_DEP_1)
	v_cmp_class_f16_e64 s17, v1, 0x204
	s_and_saveexec_b32 s13, s17
	s_cbranch_execz .LBB5_253
; %bb.10:                               ;   in Loop: Header=BB5_4 Depth=1
	v_add_nc_u32_e32 v3, s9, v3
	s_mov_b32 s17, 0
	s_delay_alu instid0(VALU_DEP_1) | instskip(NEXT) | instid1(VALU_DEP_1)
	v_ashrrev_i32_e32 v4, 31, v3
	v_lshlrev_b64 v[7:8], 2, v[3:4]
	s_delay_alu instid0(VALU_DEP_1) | instskip(NEXT) | instid1(VALU_DEP_2)
	v_add_co_u32 v7, vcc_lo, s3, v7
	v_add_co_ci_u32_e32 v8, vcc_lo, s4, v8, vcc_lo
	global_load_b32 v1, v[7:8], off
	s_waitcnt vmcnt(0)
	v_cmp_class_f16_e64 s18, v1, 0x204
	s_delay_alu instid0(VALU_DEP_1)
	s_and_saveexec_b32 s16, s18
	s_cbranch_execz .LBB5_252
; %bb.11:                               ;   in Loop: Header=BB5_4 Depth=1
	v_lshrrev_b32_e32 v1, 16, v1
	s_mov_b32 s18, 0
	s_delay_alu instid0(VALU_DEP_1) | instskip(NEXT) | instid1(VALU_DEP_1)
	v_cmp_class_f16_e64 s19, v1, 0x204
	s_and_saveexec_b32 s17, s19
	s_cbranch_execz .LBB5_251
; %bb.12:                               ;   in Loop: Header=BB5_4 Depth=1
	v_add_nc_u32_e32 v3, s9, v3
	s_mov_b32 s19, 0
	s_delay_alu instid0(VALU_DEP_1) | instskip(NEXT) | instid1(VALU_DEP_1)
	v_ashrrev_i32_e32 v4, 31, v3
	v_lshlrev_b64 v[7:8], 2, v[3:4]
	s_delay_alu instid0(VALU_DEP_1) | instskip(NEXT) | instid1(VALU_DEP_2)
	v_add_co_u32 v7, vcc_lo, s3, v7
	v_add_co_ci_u32_e32 v8, vcc_lo, s4, v8, vcc_lo
	global_load_b32 v1, v[7:8], off
	s_waitcnt vmcnt(0)
	v_cmp_class_f16_e64 s20, v1, 0x204
	s_delay_alu instid0(VALU_DEP_1)
	s_and_saveexec_b32 s18, s20
	s_cbranch_execz .LBB5_250
; %bb.13:                               ;   in Loop: Header=BB5_4 Depth=1
	;; [unrolled: 22-line block ×24, first 2 shown]
	v_lshrrev_b32_e32 v1, 16, v1
	s_mov_b32 s65, 0
	s_delay_alu instid0(VALU_DEP_1) | instskip(NEXT) | instid1(VALU_DEP_1)
	v_cmp_class_f16_e64 s66, v1, 0x204
	s_and_saveexec_b32 s64, s66
	s_cbranch_execz .LBB5_205
; %bb.58:                               ;   in Loop: Header=BB5_4 Depth=1
	v_add_nc_u32_e32 v3, s9, v3
	s_delay_alu instid0(VALU_DEP_1) | instskip(NEXT) | instid1(VALU_DEP_1)
	v_ashrrev_i32_e32 v4, 31, v3
	v_lshlrev_b64 v[7:8], 2, v[3:4]
	s_delay_alu instid0(VALU_DEP_1) | instskip(NEXT) | instid1(VALU_DEP_2)
	v_add_co_u32 v7, vcc_lo, s3, v7
	v_add_co_ci_u32_e32 v8, vcc_lo, s4, v8, vcc_lo
	global_load_b32 v1, v[7:8], off
	s_waitcnt vmcnt(0)
	v_cmp_class_f16_e64 s66, v1, 0x204
	s_mov_b32 s67, exec_lo
	s_delay_alu instid0(VALU_DEP_1) | instid1(SALU_CYCLE_1)
	s_and_b32 s66, s67, s66
                                        ; implicit-def: $vgpr10 : SGPR spill to VGPR lane
	v_writelane_b32 v10, s67, 0
	s_mov_b32 exec_lo, s66
	s_cbranch_execz .LBB5_204
; %bb.59:                               ;   in Loop: Header=BB5_4 Depth=1
	v_lshrrev_b32_e32 v1, 16, v1
	s_delay_alu instid0(VALU_DEP_1)
	v_cmp_class_f16_e64 s66, v1, 0x204
	s_mov_b32 s67, exec_lo
	s_delay_alu instid0(VALU_DEP_1) | instid1(SALU_CYCLE_1)
	s_and_b32 s66, s67, s66
	v_writelane_b32 v10, s67, 1
	s_mov_b32 exec_lo, s66
	s_cbranch_execz .LBB5_203
; %bb.60:                               ;   in Loop: Header=BB5_4 Depth=1
	v_add_nc_u32_e32 v3, s9, v3
	s_delay_alu instid0(VALU_DEP_1) | instskip(NEXT) | instid1(VALU_DEP_1)
	v_ashrrev_i32_e32 v4, 31, v3
	v_lshlrev_b64 v[7:8], 2, v[3:4]
	s_delay_alu instid0(VALU_DEP_1) | instskip(NEXT) | instid1(VALU_DEP_2)
	v_add_co_u32 v7, vcc_lo, s3, v7
	v_add_co_ci_u32_e32 v8, vcc_lo, s4, v8, vcc_lo
	global_load_b32 v1, v[7:8], off
	s_waitcnt vmcnt(0)
	v_cmp_class_f16_e64 s66, v1, 0x204
	s_mov_b32 s67, exec_lo
	s_delay_alu instid0(VALU_DEP_1) | instid1(SALU_CYCLE_1)
	s_and_b32 s66, s67, s66
	v_writelane_b32 v10, s67, 2
	s_mov_b32 exec_lo, s66
	s_cbranch_execz .LBB5_202
; %bb.61:                               ;   in Loop: Header=BB5_4 Depth=1
	v_lshrrev_b32_e32 v1, 16, v1
	s_delay_alu instid0(VALU_DEP_1)
	v_cmp_class_f16_e64 s66, v1, 0x204
	s_mov_b32 s67, exec_lo
	s_delay_alu instid0(VALU_DEP_1) | instid1(SALU_CYCLE_1)
	s_and_b32 s66, s67, s66
	v_writelane_b32 v10, s67, 3
	s_mov_b32 exec_lo, s66
	s_cbranch_execz .LBB5_201
; %bb.62:                               ;   in Loop: Header=BB5_4 Depth=1
	v_add_nc_u32_e32 v3, s9, v3
	s_delay_alu instid0(VALU_DEP_1) | instskip(NEXT) | instid1(VALU_DEP_1)
	v_ashrrev_i32_e32 v4, 31, v3
	v_lshlrev_b64 v[7:8], 2, v[3:4]
	s_delay_alu instid0(VALU_DEP_1) | instskip(NEXT) | instid1(VALU_DEP_2)
	v_add_co_u32 v7, vcc_lo, s3, v7
	v_add_co_ci_u32_e32 v8, vcc_lo, s4, v8, vcc_lo
	global_load_b32 v1, v[7:8], off
	s_waitcnt vmcnt(0)
	v_cmp_class_f16_e64 s66, v1, 0x204
	s_mov_b32 s67, exec_lo
	s_delay_alu instid0(VALU_DEP_1) | instid1(SALU_CYCLE_1)
	s_and_b32 s66, s67, s66
	;; [unrolled: 27-line block ×16, first 2 shown]
                                        ; implicit-def: $vgpr9 : SGPR spill to VGPR lane
	v_writelane_b32 v9, s67, 0
	s_mov_b32 exec_lo, s66
	s_cbranch_execz .LBB5_172
; %bb.91:                               ;   in Loop: Header=BB5_4 Depth=1
	v_lshrrev_b32_e32 v1, 16, v1
	s_delay_alu instid0(VALU_DEP_1) | instskip(NEXT) | instid1(VALU_DEP_1)
	v_cmp_class_f16_e64 s66, v1, 0x204
	s_and_saveexec_b32 s98, s66
	s_cbranch_execz .LBB5_171
; %bb.92:                               ;   in Loop: Header=BB5_4 Depth=1
	v_add_nc_u32_e32 v3, s9, v3
	s_delay_alu instid0(VALU_DEP_1) | instskip(NEXT) | instid1(VALU_DEP_1)
	v_ashrrev_i32_e32 v4, 31, v3
	v_lshlrev_b64 v[7:8], 2, v[3:4]
	s_delay_alu instid0(VALU_DEP_1) | instskip(NEXT) | instid1(VALU_DEP_2)
	v_add_co_u32 v7, vcc_lo, s3, v7
	v_add_co_ci_u32_e32 v8, vcc_lo, s4, v8, vcc_lo
	global_load_b32 v1, v[7:8], off
	s_waitcnt vmcnt(0)
	v_cmp_class_f16_e64 s66, v1, 0x204
	s_delay_alu instid0(VALU_DEP_1)
	s_and_saveexec_b32 s99, s66
	s_cbranch_execz .LBB5_170
; %bb.93:                               ;   in Loop: Header=BB5_4 Depth=1
	v_lshrrev_b32_e32 v1, 16, v1
	s_delay_alu instid0(VALU_DEP_1) | instskip(NEXT) | instid1(VALU_DEP_1)
	v_cmp_class_f16_e64 s66, v1, 0x204
	s_and_saveexec_b32 s100, s66
	s_cbranch_execz .LBB5_169
; %bb.94:                               ;   in Loop: Header=BB5_4 Depth=1
	v_add_nc_u32_e32 v3, s9, v3
	s_delay_alu instid0(VALU_DEP_1) | instskip(NEXT) | instid1(VALU_DEP_1)
	v_ashrrev_i32_e32 v4, 31, v3
	v_lshlrev_b64 v[7:8], 2, v[3:4]
	s_delay_alu instid0(VALU_DEP_1) | instskip(NEXT) | instid1(VALU_DEP_2)
	v_add_co_u32 v7, vcc_lo, s3, v7
	v_add_co_ci_u32_e32 v8, vcc_lo, s4, v8, vcc_lo
	global_load_b32 v1, v[7:8], off
	s_waitcnt vmcnt(0)
	v_cmp_class_f16_e64 s66, v1, 0x204
	s_delay_alu instid0(VALU_DEP_1)
	s_and_saveexec_b32 s101, s66
	;; [unrolled: 20-line block ×3, first 2 shown]
	s_cbranch_execz .LBB5_166
; %bb.97:                               ;   in Loop: Header=BB5_4 Depth=1
	v_lshrrev_b32_e32 v1, 16, v1
	s_delay_alu instid0(VALU_DEP_1) | instskip(NEXT) | instid1(VALU_DEP_1)
	v_cmp_class_f16_e64 s66, v1, 0x204
	s_and_saveexec_b32 s104, s66
	s_cbranch_execz .LBB5_165
; %bb.98:                               ;   in Loop: Header=BB5_4 Depth=1
	v_add_nc_u32_e32 v3, s9, v3
	s_delay_alu instid0(VALU_DEP_1) | instskip(NEXT) | instid1(VALU_DEP_1)
	v_ashrrev_i32_e32 v4, 31, v3
	v_lshlrev_b64 v[7:8], 2, v[3:4]
	s_delay_alu instid0(VALU_DEP_1) | instskip(NEXT) | instid1(VALU_DEP_2)
	v_add_co_u32 v7, vcc_lo, s3, v7
	v_add_co_ci_u32_e32 v8, vcc_lo, s4, v8, vcc_lo
	global_load_b32 v1, v[7:8], off
	s_waitcnt vmcnt(0)
	v_cmp_class_f16_e64 s66, v1, 0x204
	s_delay_alu instid0(VALU_DEP_1)
	s_and_saveexec_b32 vcc_hi, s66
	s_cbranch_execz .LBB5_164
; %bb.99:                               ;   in Loop: Header=BB5_4 Depth=1
	v_lshrrev_b32_e32 v1, 16, v1
	s_mov_b32 s66, 0
	s_delay_alu instid0(VALU_DEP_1) | instskip(NEXT) | instid1(VALU_DEP_1)
	v_cmp_class_f16_e64 s67, v1, 0x204
	s_and_saveexec_b32 s65, s67
	s_cbranch_execz .LBB5_163
; %bb.100:                              ;   in Loop: Header=BB5_4 Depth=1
	v_add_nc_u32_e32 v3, s9, v3
	s_mov_b32 s67, 0
	s_delay_alu instid0(VALU_DEP_1) | instskip(NEXT) | instid1(VALU_DEP_1)
	v_ashrrev_i32_e32 v4, 31, v3
	v_lshlrev_b64 v[7:8], 2, v[3:4]
	s_delay_alu instid0(VALU_DEP_1) | instskip(NEXT) | instid1(VALU_DEP_2)
	v_add_co_u32 v7, vcc_lo, s3, v7
	v_add_co_ci_u32_e32 v8, vcc_lo, s4, v8, vcc_lo
	global_load_b32 v1, v[7:8], off
	s_waitcnt vmcnt(0)
	v_cmp_class_f16_e64 s68, v1, 0x204
	s_delay_alu instid0(VALU_DEP_1)
	s_and_saveexec_b32 s66, s68
	s_cbranch_execz .LBB5_162
; %bb.101:                              ;   in Loop: Header=BB5_4 Depth=1
	v_lshrrev_b32_e32 v1, 16, v1
	s_mov_b32 s68, 0
	s_delay_alu instid0(VALU_DEP_1) | instskip(NEXT) | instid1(VALU_DEP_1)
	v_cmp_class_f16_e64 s69, v1, 0x204
	s_and_saveexec_b32 s67, s69
	s_cbranch_execz .LBB5_161
; %bb.102:                              ;   in Loop: Header=BB5_4 Depth=1
	v_add_nc_u32_e32 v3, s9, v3
	s_mov_b32 s69, 0
	s_delay_alu instid0(VALU_DEP_1) | instskip(NEXT) | instid1(VALU_DEP_1)
	v_ashrrev_i32_e32 v4, 31, v3
	v_lshlrev_b64 v[7:8], 2, v[3:4]
	s_delay_alu instid0(VALU_DEP_1) | instskip(NEXT) | instid1(VALU_DEP_2)
	v_add_co_u32 v7, vcc_lo, s3, v7
	v_add_co_ci_u32_e32 v8, vcc_lo, s4, v8, vcc_lo
	global_load_b32 v1, v[7:8], off
	s_waitcnt vmcnt(0)
	v_cmp_class_f16_e64 s70, v1, 0x204
	s_delay_alu instid0(VALU_DEP_1)
	s_and_saveexec_b32 s68, s70
	s_cbranch_execz .LBB5_160
; %bb.103:                              ;   in Loop: Header=BB5_4 Depth=1
	;; [unrolled: 22-line block ×15, first 2 shown]
	v_lshrrev_b32_e32 v1, 16, v1
	s_mov_b32 vcc_lo, 0
	s_delay_alu instid0(VALU_DEP_1) | instskip(NEXT) | instid1(VALU_DEP_1)
	v_cmp_class_f16_e64 s96, v1, 0x204
	s_and_saveexec_b32 s95, s96
	s_cbranch_execz .LBB5_133
; %bb.130:                              ;   in Loop: Header=BB5_4 Depth=1
	v_add_nc_u32_e32 v3, s9, v3
	s_delay_alu instid0(VALU_DEP_1) | instskip(NEXT) | instid1(VALU_DEP_1)
	v_ashrrev_i32_e32 v4, 31, v3
	v_lshlrev_b64 v[3:4], 2, v[3:4]
	s_delay_alu instid0(VALU_DEP_1) | instskip(NEXT) | instid1(VALU_DEP_2)
	v_add_co_u32 v3, vcc_lo, s3, v3
	v_add_co_ci_u32_e32 v4, vcc_lo, s4, v4, vcc_lo
	s_mov_b32 vcc_lo, 0
	global_load_b32 v1, v[3:4], off
	s_waitcnt vmcnt(0)
	v_cmp_class_f16_e64 s97, v1, 0x204
	s_delay_alu instid0(VALU_DEP_1)
	s_and_saveexec_b32 s96, s97
; %bb.131:                              ;   in Loop: Header=BB5_4 Depth=1
	v_lshrrev_b32_e32 v1, 16, v1
	s_delay_alu instid0(VALU_DEP_1) | instskip(NEXT) | instid1(VALU_DEP_1)
	v_cmp_class_f16_e64 s97, v1, 0x204
	s_and_b32 vcc_lo, s97, exec_lo
; %bb.132:                              ;   in Loop: Header=BB5_4 Depth=1
	s_or_b32 exec_lo, exec_lo, s96
	s_delay_alu instid0(SALU_CYCLE_1)
	s_and_b32 vcc_lo, vcc_lo, exec_lo
.LBB5_133:                              ;   in Loop: Header=BB5_4 Depth=1
	s_or_b32 exec_lo, exec_lo, s95
	s_delay_alu instid0(SALU_CYCLE_1)
	s_and_b32 s95, vcc_lo, exec_lo
.LBB5_134:                              ;   in Loop: Header=BB5_4 Depth=1
	s_or_b32 exec_lo, exec_lo, s94
	s_delay_alu instid0(SALU_CYCLE_1)
	s_and_b32 s94, s95, exec_lo
.LBB5_135:                              ;   in Loop: Header=BB5_4 Depth=1
	s_or_b32 exec_lo, exec_lo, s93
	s_delay_alu instid0(SALU_CYCLE_1)
	s_and_b32 s93, s94, exec_lo
.LBB5_136:                              ;   in Loop: Header=BB5_4 Depth=1
	s_or_b32 exec_lo, exec_lo, s92
	s_delay_alu instid0(SALU_CYCLE_1)
	s_and_b32 s92, s93, exec_lo
.LBB5_137:                              ;   in Loop: Header=BB5_4 Depth=1
	s_or_b32 exec_lo, exec_lo, s91
	s_delay_alu instid0(SALU_CYCLE_1)
	s_and_b32 s91, s92, exec_lo
.LBB5_138:                              ;   in Loop: Header=BB5_4 Depth=1
	s_or_b32 exec_lo, exec_lo, s90
	s_delay_alu instid0(SALU_CYCLE_1)
	s_and_b32 s90, s91, exec_lo
.LBB5_139:                              ;   in Loop: Header=BB5_4 Depth=1
	s_or_b32 exec_lo, exec_lo, s89
	s_delay_alu instid0(SALU_CYCLE_1)
	s_and_b32 s89, s90, exec_lo
.LBB5_140:                              ;   in Loop: Header=BB5_4 Depth=1
	s_or_b32 exec_lo, exec_lo, s88
	s_delay_alu instid0(SALU_CYCLE_1)
	s_and_b32 s88, s89, exec_lo
.LBB5_141:                              ;   in Loop: Header=BB5_4 Depth=1
	s_or_b32 exec_lo, exec_lo, s87
	s_delay_alu instid0(SALU_CYCLE_1)
	s_and_b32 s87, s88, exec_lo
.LBB5_142:                              ;   in Loop: Header=BB5_4 Depth=1
	s_or_b32 exec_lo, exec_lo, s86
	s_delay_alu instid0(SALU_CYCLE_1)
	s_and_b32 s86, s87, exec_lo
.LBB5_143:                              ;   in Loop: Header=BB5_4 Depth=1
	s_or_b32 exec_lo, exec_lo, s85
	s_delay_alu instid0(SALU_CYCLE_1)
	s_and_b32 s85, s86, exec_lo
.LBB5_144:                              ;   in Loop: Header=BB5_4 Depth=1
	s_or_b32 exec_lo, exec_lo, s84
	s_delay_alu instid0(SALU_CYCLE_1)
	s_and_b32 s84, s85, exec_lo
.LBB5_145:                              ;   in Loop: Header=BB5_4 Depth=1
	s_or_b32 exec_lo, exec_lo, s83
	s_delay_alu instid0(SALU_CYCLE_1)
	s_and_b32 s83, s84, exec_lo
.LBB5_146:                              ;   in Loop: Header=BB5_4 Depth=1
	s_or_b32 exec_lo, exec_lo, s82
	s_delay_alu instid0(SALU_CYCLE_1)
	s_and_b32 s82, s83, exec_lo
.LBB5_147:                              ;   in Loop: Header=BB5_4 Depth=1
	s_or_b32 exec_lo, exec_lo, s81
	s_delay_alu instid0(SALU_CYCLE_1)
	s_and_b32 s81, s82, exec_lo
.LBB5_148:                              ;   in Loop: Header=BB5_4 Depth=1
	s_or_b32 exec_lo, exec_lo, s80
	s_delay_alu instid0(SALU_CYCLE_1)
	s_and_b32 s80, s81, exec_lo
.LBB5_149:                              ;   in Loop: Header=BB5_4 Depth=1
	s_or_b32 exec_lo, exec_lo, s79
	s_delay_alu instid0(SALU_CYCLE_1)
	s_and_b32 s79, s80, exec_lo
.LBB5_150:                              ;   in Loop: Header=BB5_4 Depth=1
	s_or_b32 exec_lo, exec_lo, s78
	s_delay_alu instid0(SALU_CYCLE_1)
	s_and_b32 s78, s79, exec_lo
.LBB5_151:                              ;   in Loop: Header=BB5_4 Depth=1
	s_or_b32 exec_lo, exec_lo, s77
	s_delay_alu instid0(SALU_CYCLE_1)
	s_and_b32 s77, s78, exec_lo
.LBB5_152:                              ;   in Loop: Header=BB5_4 Depth=1
	s_or_b32 exec_lo, exec_lo, s76
	s_delay_alu instid0(SALU_CYCLE_1)
	s_and_b32 s76, s77, exec_lo
.LBB5_153:                              ;   in Loop: Header=BB5_4 Depth=1
	s_or_b32 exec_lo, exec_lo, s75
	s_delay_alu instid0(SALU_CYCLE_1)
	s_and_b32 s75, s76, exec_lo
.LBB5_154:                              ;   in Loop: Header=BB5_4 Depth=1
	s_or_b32 exec_lo, exec_lo, s74
	s_delay_alu instid0(SALU_CYCLE_1)
	s_and_b32 s74, s75, exec_lo
.LBB5_155:                              ;   in Loop: Header=BB5_4 Depth=1
	s_or_b32 exec_lo, exec_lo, s73
	s_delay_alu instid0(SALU_CYCLE_1)
	s_and_b32 s73, s74, exec_lo
.LBB5_156:                              ;   in Loop: Header=BB5_4 Depth=1
	s_or_b32 exec_lo, exec_lo, s72
	s_delay_alu instid0(SALU_CYCLE_1)
	s_and_b32 s72, s73, exec_lo
.LBB5_157:                              ;   in Loop: Header=BB5_4 Depth=1
	s_or_b32 exec_lo, exec_lo, s71
	s_delay_alu instid0(SALU_CYCLE_1)
	s_and_b32 s71, s72, exec_lo
.LBB5_158:                              ;   in Loop: Header=BB5_4 Depth=1
	s_or_b32 exec_lo, exec_lo, s70
	s_delay_alu instid0(SALU_CYCLE_1)
	s_and_b32 s70, s71, exec_lo
.LBB5_159:                              ;   in Loop: Header=BB5_4 Depth=1
	s_or_b32 exec_lo, exec_lo, s69
	s_delay_alu instid0(SALU_CYCLE_1)
	s_and_b32 s69, s70, exec_lo
.LBB5_160:                              ;   in Loop: Header=BB5_4 Depth=1
	s_or_b32 exec_lo, exec_lo, s68
	s_delay_alu instid0(SALU_CYCLE_1)
	s_and_b32 s68, s69, exec_lo
.LBB5_161:                              ;   in Loop: Header=BB5_4 Depth=1
	s_or_b32 exec_lo, exec_lo, s67
	s_delay_alu instid0(SALU_CYCLE_1)
	s_and_b32 s67, s68, exec_lo
.LBB5_162:                              ;   in Loop: Header=BB5_4 Depth=1
	s_or_b32 exec_lo, exec_lo, s66
	s_delay_alu instid0(SALU_CYCLE_1)
	s_and_b32 s66, s67, exec_lo
.LBB5_163:                              ;   in Loop: Header=BB5_4 Depth=1
	s_or_b32 exec_lo, exec_lo, s65
	s_delay_alu instid0(SALU_CYCLE_1)
	s_and_b32 s65, s66, exec_lo
.LBB5_164:                              ;   in Loop: Header=BB5_4 Depth=1
	s_or_b32 exec_lo, exec_lo, vcc_hi
	s_delay_alu instid0(SALU_CYCLE_1)
	s_and_b32 s65, s65, exec_lo
.LBB5_165:                              ;   in Loop: Header=BB5_4 Depth=1
	s_or_b32 exec_lo, exec_lo, s104
	s_delay_alu instid0(SALU_CYCLE_1)
	s_and_b32 s65, s65, exec_lo
.LBB5_166:                              ;   in Loop: Header=BB5_4 Depth=1
	s_or_b32 exec_lo, exec_lo, s103
	s_delay_alu instid0(SALU_CYCLE_1)
	s_and_b32 s65, s65, exec_lo
.LBB5_167:                              ;   in Loop: Header=BB5_4 Depth=1
	s_or_b32 exec_lo, exec_lo, s102
	s_delay_alu instid0(SALU_CYCLE_1)
	s_and_b32 s65, s65, exec_lo
.LBB5_168:                              ;   in Loop: Header=BB5_4 Depth=1
	s_or_b32 exec_lo, exec_lo, s101
	s_delay_alu instid0(SALU_CYCLE_1)
	s_and_b32 s65, s65, exec_lo
.LBB5_169:                              ;   in Loop: Header=BB5_4 Depth=1
	s_or_b32 exec_lo, exec_lo, s100
	s_delay_alu instid0(SALU_CYCLE_1)
	s_and_b32 s65, s65, exec_lo
.LBB5_170:                              ;   in Loop: Header=BB5_4 Depth=1
	s_or_b32 exec_lo, exec_lo, s99
	s_delay_alu instid0(SALU_CYCLE_1)
	s_and_b32 s65, s65, exec_lo
.LBB5_171:                              ;   in Loop: Header=BB5_4 Depth=1
	s_or_b32 exec_lo, exec_lo, s98
	s_delay_alu instid0(SALU_CYCLE_1)
	s_and_b32 s65, s65, exec_lo
.LBB5_172:                              ;   in Loop: Header=BB5_4 Depth=1
	s_delay_alu instid0(VALU_DEP_1) | instskip(NEXT) | instid1(VALU_DEP_1)
	v_readlane_b32 s66, v9, 0
	s_or_b32 exec_lo, exec_lo, s66
	s_delay_alu instid0(SALU_CYCLE_1)
	s_and_b32 s65, s65, exec_lo
.LBB5_173:                              ;   in Loop: Header=BB5_4 Depth=1
	s_delay_alu instid0(VALU_DEP_1) | instskip(NEXT) | instid1(VALU_DEP_1)
	v_readlane_b32 s66, v10, 31
	s_or_b32 exec_lo, exec_lo, s66
	s_delay_alu instid0(SALU_CYCLE_1)
	s_and_b32 s65, s65, exec_lo
.LBB5_174:                              ;   in Loop: Header=BB5_4 Depth=1
	s_delay_alu instid0(VALU_DEP_1) | instskip(NEXT) | instid1(VALU_DEP_1)
	v_readlane_b32 s66, v10, 30
	s_or_b32 exec_lo, exec_lo, s66
	s_delay_alu instid0(SALU_CYCLE_1)
	s_and_b32 s65, s65, exec_lo
.LBB5_175:                              ;   in Loop: Header=BB5_4 Depth=1
	s_delay_alu instid0(VALU_DEP_1) | instskip(NEXT) | instid1(VALU_DEP_1)
	v_readlane_b32 s66, v10, 29
	s_or_b32 exec_lo, exec_lo, s66
	s_delay_alu instid0(SALU_CYCLE_1)
	s_and_b32 s65, s65, exec_lo
.LBB5_176:                              ;   in Loop: Header=BB5_4 Depth=1
	s_delay_alu instid0(VALU_DEP_1) | instskip(NEXT) | instid1(VALU_DEP_1)
	v_readlane_b32 s66, v10, 28
	s_or_b32 exec_lo, exec_lo, s66
	s_delay_alu instid0(SALU_CYCLE_1)
	s_and_b32 s65, s65, exec_lo
.LBB5_177:                              ;   in Loop: Header=BB5_4 Depth=1
	s_delay_alu instid0(VALU_DEP_1) | instskip(NEXT) | instid1(VALU_DEP_1)
	v_readlane_b32 s66, v10, 27
	s_or_b32 exec_lo, exec_lo, s66
	s_delay_alu instid0(SALU_CYCLE_1)
	s_and_b32 s65, s65, exec_lo
.LBB5_178:                              ;   in Loop: Header=BB5_4 Depth=1
	s_delay_alu instid0(VALU_DEP_1) | instskip(NEXT) | instid1(VALU_DEP_1)
	v_readlane_b32 s66, v10, 26
	s_or_b32 exec_lo, exec_lo, s66
	s_delay_alu instid0(SALU_CYCLE_1)
	s_and_b32 s65, s65, exec_lo
.LBB5_179:                              ;   in Loop: Header=BB5_4 Depth=1
	s_delay_alu instid0(VALU_DEP_1) | instskip(NEXT) | instid1(VALU_DEP_1)
	v_readlane_b32 s66, v10, 25
	s_or_b32 exec_lo, exec_lo, s66
	s_delay_alu instid0(SALU_CYCLE_1)
	s_and_b32 s65, s65, exec_lo
.LBB5_180:                              ;   in Loop: Header=BB5_4 Depth=1
	s_delay_alu instid0(VALU_DEP_1) | instskip(NEXT) | instid1(VALU_DEP_1)
	v_readlane_b32 s66, v10, 24
	s_or_b32 exec_lo, exec_lo, s66
	s_delay_alu instid0(SALU_CYCLE_1)
	s_and_b32 s65, s65, exec_lo
.LBB5_181:                              ;   in Loop: Header=BB5_4 Depth=1
	s_delay_alu instid0(VALU_DEP_1) | instskip(NEXT) | instid1(VALU_DEP_1)
	v_readlane_b32 s66, v10, 23
	s_or_b32 exec_lo, exec_lo, s66
	s_delay_alu instid0(SALU_CYCLE_1)
	s_and_b32 s65, s65, exec_lo
.LBB5_182:                              ;   in Loop: Header=BB5_4 Depth=1
	s_delay_alu instid0(VALU_DEP_1) | instskip(NEXT) | instid1(VALU_DEP_1)
	v_readlane_b32 s66, v10, 22
	s_or_b32 exec_lo, exec_lo, s66
	s_delay_alu instid0(SALU_CYCLE_1)
	s_and_b32 s65, s65, exec_lo
.LBB5_183:                              ;   in Loop: Header=BB5_4 Depth=1
	s_delay_alu instid0(VALU_DEP_1) | instskip(NEXT) | instid1(VALU_DEP_1)
	v_readlane_b32 s66, v10, 21
	s_or_b32 exec_lo, exec_lo, s66
	s_delay_alu instid0(SALU_CYCLE_1)
	s_and_b32 s65, s65, exec_lo
.LBB5_184:                              ;   in Loop: Header=BB5_4 Depth=1
	s_delay_alu instid0(VALU_DEP_1) | instskip(NEXT) | instid1(VALU_DEP_1)
	v_readlane_b32 s66, v10, 20
	s_or_b32 exec_lo, exec_lo, s66
	s_delay_alu instid0(SALU_CYCLE_1)
	s_and_b32 s65, s65, exec_lo
.LBB5_185:                              ;   in Loop: Header=BB5_4 Depth=1
	s_delay_alu instid0(VALU_DEP_1) | instskip(NEXT) | instid1(VALU_DEP_1)
	v_readlane_b32 s66, v10, 19
	s_or_b32 exec_lo, exec_lo, s66
	s_delay_alu instid0(SALU_CYCLE_1)
	s_and_b32 s65, s65, exec_lo
.LBB5_186:                              ;   in Loop: Header=BB5_4 Depth=1
	s_delay_alu instid0(VALU_DEP_1) | instskip(NEXT) | instid1(VALU_DEP_1)
	v_readlane_b32 s66, v10, 18
	s_or_b32 exec_lo, exec_lo, s66
	s_delay_alu instid0(SALU_CYCLE_1)
	s_and_b32 s65, s65, exec_lo
.LBB5_187:                              ;   in Loop: Header=BB5_4 Depth=1
	s_delay_alu instid0(VALU_DEP_1) | instskip(NEXT) | instid1(VALU_DEP_1)
	v_readlane_b32 s66, v10, 17
	s_or_b32 exec_lo, exec_lo, s66
	s_delay_alu instid0(SALU_CYCLE_1)
	s_and_b32 s65, s65, exec_lo
.LBB5_188:                              ;   in Loop: Header=BB5_4 Depth=1
	s_delay_alu instid0(VALU_DEP_1) | instskip(NEXT) | instid1(VALU_DEP_1)
	v_readlane_b32 s66, v10, 16
	s_or_b32 exec_lo, exec_lo, s66
	s_delay_alu instid0(SALU_CYCLE_1)
	s_and_b32 s65, s65, exec_lo
.LBB5_189:                              ;   in Loop: Header=BB5_4 Depth=1
	s_delay_alu instid0(VALU_DEP_1) | instskip(NEXT) | instid1(VALU_DEP_1)
	v_readlane_b32 s66, v10, 15
	s_or_b32 exec_lo, exec_lo, s66
	s_delay_alu instid0(SALU_CYCLE_1)
	s_and_b32 s65, s65, exec_lo
.LBB5_190:                              ;   in Loop: Header=BB5_4 Depth=1
	s_delay_alu instid0(VALU_DEP_1) | instskip(NEXT) | instid1(VALU_DEP_1)
	v_readlane_b32 s66, v10, 14
	s_or_b32 exec_lo, exec_lo, s66
	s_delay_alu instid0(SALU_CYCLE_1)
	s_and_b32 s65, s65, exec_lo
.LBB5_191:                              ;   in Loop: Header=BB5_4 Depth=1
	s_delay_alu instid0(VALU_DEP_1) | instskip(NEXT) | instid1(VALU_DEP_1)
	v_readlane_b32 s66, v10, 13
	s_or_b32 exec_lo, exec_lo, s66
	s_delay_alu instid0(SALU_CYCLE_1)
	s_and_b32 s65, s65, exec_lo
.LBB5_192:                              ;   in Loop: Header=BB5_4 Depth=1
	s_delay_alu instid0(VALU_DEP_1) | instskip(NEXT) | instid1(VALU_DEP_1)
	v_readlane_b32 s66, v10, 12
	s_or_b32 exec_lo, exec_lo, s66
	s_delay_alu instid0(SALU_CYCLE_1)
	s_and_b32 s65, s65, exec_lo
.LBB5_193:                              ;   in Loop: Header=BB5_4 Depth=1
	s_delay_alu instid0(VALU_DEP_1) | instskip(NEXT) | instid1(VALU_DEP_1)
	v_readlane_b32 s66, v10, 11
	s_or_b32 exec_lo, exec_lo, s66
	s_delay_alu instid0(SALU_CYCLE_1)
	s_and_b32 s65, s65, exec_lo
.LBB5_194:                              ;   in Loop: Header=BB5_4 Depth=1
	s_delay_alu instid0(VALU_DEP_1) | instskip(NEXT) | instid1(VALU_DEP_1)
	v_readlane_b32 s66, v10, 10
	s_or_b32 exec_lo, exec_lo, s66
	s_delay_alu instid0(SALU_CYCLE_1)
	s_and_b32 s65, s65, exec_lo
.LBB5_195:                              ;   in Loop: Header=BB5_4 Depth=1
	s_delay_alu instid0(VALU_DEP_1) | instskip(NEXT) | instid1(VALU_DEP_1)
	v_readlane_b32 s66, v10, 9
	s_or_b32 exec_lo, exec_lo, s66
	s_delay_alu instid0(SALU_CYCLE_1)
	s_and_b32 s65, s65, exec_lo
.LBB5_196:                              ;   in Loop: Header=BB5_4 Depth=1
	s_delay_alu instid0(VALU_DEP_1) | instskip(NEXT) | instid1(VALU_DEP_1)
	v_readlane_b32 s66, v10, 8
	s_or_b32 exec_lo, exec_lo, s66
	s_delay_alu instid0(SALU_CYCLE_1)
	s_and_b32 s65, s65, exec_lo
.LBB5_197:                              ;   in Loop: Header=BB5_4 Depth=1
	s_delay_alu instid0(VALU_DEP_1) | instskip(NEXT) | instid1(VALU_DEP_1)
	v_readlane_b32 s66, v10, 7
	s_or_b32 exec_lo, exec_lo, s66
	s_delay_alu instid0(SALU_CYCLE_1)
	s_and_b32 s65, s65, exec_lo
.LBB5_198:                              ;   in Loop: Header=BB5_4 Depth=1
	s_delay_alu instid0(VALU_DEP_1) | instskip(NEXT) | instid1(VALU_DEP_1)
	v_readlane_b32 s66, v10, 6
	s_or_b32 exec_lo, exec_lo, s66
	s_delay_alu instid0(SALU_CYCLE_1)
	s_and_b32 s65, s65, exec_lo
.LBB5_199:                              ;   in Loop: Header=BB5_4 Depth=1
	s_delay_alu instid0(VALU_DEP_1) | instskip(NEXT) | instid1(VALU_DEP_1)
	v_readlane_b32 s66, v10, 5
	s_or_b32 exec_lo, exec_lo, s66
	s_delay_alu instid0(SALU_CYCLE_1)
	s_and_b32 s65, s65, exec_lo
.LBB5_200:                              ;   in Loop: Header=BB5_4 Depth=1
	s_delay_alu instid0(VALU_DEP_1) | instskip(NEXT) | instid1(VALU_DEP_1)
	v_readlane_b32 s66, v10, 4
	s_or_b32 exec_lo, exec_lo, s66
	s_delay_alu instid0(SALU_CYCLE_1)
	s_and_b32 s65, s65, exec_lo
.LBB5_201:                              ;   in Loop: Header=BB5_4 Depth=1
	s_delay_alu instid0(VALU_DEP_1) | instskip(NEXT) | instid1(VALU_DEP_1)
	v_readlane_b32 s66, v10, 3
	s_or_b32 exec_lo, exec_lo, s66
	s_delay_alu instid0(SALU_CYCLE_1)
	s_and_b32 s65, s65, exec_lo
.LBB5_202:                              ;   in Loop: Header=BB5_4 Depth=1
	s_delay_alu instid0(VALU_DEP_1) | instskip(NEXT) | instid1(VALU_DEP_1)
	v_readlane_b32 s66, v10, 2
	s_or_b32 exec_lo, exec_lo, s66
	s_delay_alu instid0(SALU_CYCLE_1)
	s_and_b32 s65, s65, exec_lo
.LBB5_203:                              ;   in Loop: Header=BB5_4 Depth=1
	s_delay_alu instid0(VALU_DEP_1) | instskip(NEXT) | instid1(VALU_DEP_1)
	v_readlane_b32 s66, v10, 1
	s_or_b32 exec_lo, exec_lo, s66
	s_delay_alu instid0(SALU_CYCLE_1)
	s_and_b32 s65, s65, exec_lo
.LBB5_204:                              ;   in Loop: Header=BB5_4 Depth=1
	s_delay_alu instid0(VALU_DEP_1) | instskip(NEXT) | instid1(VALU_DEP_1)
	v_readlane_b32 s66, v10, 0
	s_or_b32 exec_lo, exec_lo, s66
	s_delay_alu instid0(SALU_CYCLE_1)
	s_and_b32 s65, s65, exec_lo
.LBB5_205:                              ;   in Loop: Header=BB5_4 Depth=1
	s_or_b32 exec_lo, exec_lo, s64
	s_delay_alu instid0(SALU_CYCLE_1)
	s_and_b32 s64, s65, exec_lo
.LBB5_206:                              ;   in Loop: Header=BB5_4 Depth=1
	s_or_b32 exec_lo, exec_lo, s63
	s_delay_alu instid0(SALU_CYCLE_1)
	s_and_b32 s63, s64, exec_lo
.LBB5_207:                              ;   in Loop: Header=BB5_4 Depth=1
	s_or_b32 exec_lo, exec_lo, s62
	s_delay_alu instid0(SALU_CYCLE_1)
	s_and_b32 s62, s63, exec_lo
.LBB5_208:                              ;   in Loop: Header=BB5_4 Depth=1
	s_or_b32 exec_lo, exec_lo, s61
	s_delay_alu instid0(SALU_CYCLE_1)
	s_and_b32 s61, s62, exec_lo
.LBB5_209:                              ;   in Loop: Header=BB5_4 Depth=1
	s_or_b32 exec_lo, exec_lo, s60
	s_delay_alu instid0(SALU_CYCLE_1)
	s_and_b32 s60, s61, exec_lo
.LBB5_210:                              ;   in Loop: Header=BB5_4 Depth=1
	s_or_b32 exec_lo, exec_lo, s59
	s_delay_alu instid0(SALU_CYCLE_1)
	s_and_b32 s59, s60, exec_lo
.LBB5_211:                              ;   in Loop: Header=BB5_4 Depth=1
	s_or_b32 exec_lo, exec_lo, s58
	s_delay_alu instid0(SALU_CYCLE_1)
	s_and_b32 s58, s59, exec_lo
.LBB5_212:                              ;   in Loop: Header=BB5_4 Depth=1
	s_or_b32 exec_lo, exec_lo, s57
	s_delay_alu instid0(SALU_CYCLE_1)
	s_and_b32 s57, s58, exec_lo
.LBB5_213:                              ;   in Loop: Header=BB5_4 Depth=1
	s_or_b32 exec_lo, exec_lo, s56
	s_delay_alu instid0(SALU_CYCLE_1)
	s_and_b32 s56, s57, exec_lo
.LBB5_214:                              ;   in Loop: Header=BB5_4 Depth=1
	s_or_b32 exec_lo, exec_lo, s55
	s_delay_alu instid0(SALU_CYCLE_1)
	s_and_b32 s55, s56, exec_lo
.LBB5_215:                              ;   in Loop: Header=BB5_4 Depth=1
	s_or_b32 exec_lo, exec_lo, s54
	s_delay_alu instid0(SALU_CYCLE_1)
	s_and_b32 s54, s55, exec_lo
.LBB5_216:                              ;   in Loop: Header=BB5_4 Depth=1
	s_or_b32 exec_lo, exec_lo, s53
	s_delay_alu instid0(SALU_CYCLE_1)
	s_and_b32 s53, s54, exec_lo
.LBB5_217:                              ;   in Loop: Header=BB5_4 Depth=1
	s_or_b32 exec_lo, exec_lo, s52
	s_delay_alu instid0(SALU_CYCLE_1)
	s_and_b32 s52, s53, exec_lo
.LBB5_218:                              ;   in Loop: Header=BB5_4 Depth=1
	s_or_b32 exec_lo, exec_lo, s51
	s_delay_alu instid0(SALU_CYCLE_1)
	s_and_b32 s51, s52, exec_lo
.LBB5_219:                              ;   in Loop: Header=BB5_4 Depth=1
	s_or_b32 exec_lo, exec_lo, s50
	s_delay_alu instid0(SALU_CYCLE_1)
	s_and_b32 s50, s51, exec_lo
.LBB5_220:                              ;   in Loop: Header=BB5_4 Depth=1
	s_or_b32 exec_lo, exec_lo, s49
	s_delay_alu instid0(SALU_CYCLE_1)
	s_and_b32 s49, s50, exec_lo
.LBB5_221:                              ;   in Loop: Header=BB5_4 Depth=1
	s_or_b32 exec_lo, exec_lo, s48
	s_delay_alu instid0(SALU_CYCLE_1)
	s_and_b32 s48, s49, exec_lo
.LBB5_222:                              ;   in Loop: Header=BB5_4 Depth=1
	s_or_b32 exec_lo, exec_lo, s47
	s_delay_alu instid0(SALU_CYCLE_1)
	s_and_b32 s47, s48, exec_lo
.LBB5_223:                              ;   in Loop: Header=BB5_4 Depth=1
	s_or_b32 exec_lo, exec_lo, s46
	s_delay_alu instid0(SALU_CYCLE_1)
	s_and_b32 s46, s47, exec_lo
.LBB5_224:                              ;   in Loop: Header=BB5_4 Depth=1
	s_or_b32 exec_lo, exec_lo, s45
	s_delay_alu instid0(SALU_CYCLE_1)
	s_and_b32 s45, s46, exec_lo
.LBB5_225:                              ;   in Loop: Header=BB5_4 Depth=1
	s_or_b32 exec_lo, exec_lo, s44
	s_delay_alu instid0(SALU_CYCLE_1)
	s_and_b32 s44, s45, exec_lo
.LBB5_226:                              ;   in Loop: Header=BB5_4 Depth=1
	s_or_b32 exec_lo, exec_lo, s43
	s_delay_alu instid0(SALU_CYCLE_1)
	s_and_b32 s43, s44, exec_lo
.LBB5_227:                              ;   in Loop: Header=BB5_4 Depth=1
	s_or_b32 exec_lo, exec_lo, s42
	s_delay_alu instid0(SALU_CYCLE_1)
	s_and_b32 s42, s43, exec_lo
.LBB5_228:                              ;   in Loop: Header=BB5_4 Depth=1
	s_or_b32 exec_lo, exec_lo, s41
	s_delay_alu instid0(SALU_CYCLE_1)
	s_and_b32 s41, s42, exec_lo
.LBB5_229:                              ;   in Loop: Header=BB5_4 Depth=1
	s_or_b32 exec_lo, exec_lo, s40
	s_delay_alu instid0(SALU_CYCLE_1)
	s_and_b32 s40, s41, exec_lo
.LBB5_230:                              ;   in Loop: Header=BB5_4 Depth=1
	s_or_b32 exec_lo, exec_lo, s39
	s_delay_alu instid0(SALU_CYCLE_1)
	s_and_b32 s39, s40, exec_lo
.LBB5_231:                              ;   in Loop: Header=BB5_4 Depth=1
	s_or_b32 exec_lo, exec_lo, s38
	s_delay_alu instid0(SALU_CYCLE_1)
	s_and_b32 s38, s39, exec_lo
.LBB5_232:                              ;   in Loop: Header=BB5_4 Depth=1
	s_or_b32 exec_lo, exec_lo, s37
	s_delay_alu instid0(SALU_CYCLE_1)
	s_and_b32 s37, s38, exec_lo
.LBB5_233:                              ;   in Loop: Header=BB5_4 Depth=1
	s_or_b32 exec_lo, exec_lo, s36
	s_delay_alu instid0(SALU_CYCLE_1)
	s_and_b32 s36, s37, exec_lo
.LBB5_234:                              ;   in Loop: Header=BB5_4 Depth=1
	s_or_b32 exec_lo, exec_lo, s35
	s_delay_alu instid0(SALU_CYCLE_1)
	s_and_b32 s35, s36, exec_lo
.LBB5_235:                              ;   in Loop: Header=BB5_4 Depth=1
	s_or_b32 exec_lo, exec_lo, s34
	s_delay_alu instid0(SALU_CYCLE_1)
	s_and_b32 s34, s35, exec_lo
.LBB5_236:                              ;   in Loop: Header=BB5_4 Depth=1
	s_or_b32 exec_lo, exec_lo, s33
	s_delay_alu instid0(SALU_CYCLE_1)
	s_and_b32 s33, s34, exec_lo
.LBB5_237:                              ;   in Loop: Header=BB5_4 Depth=1
	s_or_b32 exec_lo, exec_lo, s31
	s_delay_alu instid0(SALU_CYCLE_1)
	s_and_b32 s31, s33, exec_lo
.LBB5_238:                              ;   in Loop: Header=BB5_4 Depth=1
	s_or_b32 exec_lo, exec_lo, s30
	s_delay_alu instid0(SALU_CYCLE_1)
	s_and_b32 s30, s31, exec_lo
.LBB5_239:                              ;   in Loop: Header=BB5_4 Depth=1
	s_or_b32 exec_lo, exec_lo, s29
	s_delay_alu instid0(SALU_CYCLE_1)
	s_and_b32 s29, s30, exec_lo
.LBB5_240:                              ;   in Loop: Header=BB5_4 Depth=1
	s_or_b32 exec_lo, exec_lo, s28
	s_delay_alu instid0(SALU_CYCLE_1)
	s_and_b32 s28, s29, exec_lo
.LBB5_241:                              ;   in Loop: Header=BB5_4 Depth=1
	s_or_b32 exec_lo, exec_lo, s27
	s_delay_alu instid0(SALU_CYCLE_1)
	s_and_b32 s27, s28, exec_lo
.LBB5_242:                              ;   in Loop: Header=BB5_4 Depth=1
	s_or_b32 exec_lo, exec_lo, s26
	s_delay_alu instid0(SALU_CYCLE_1)
	s_and_b32 s26, s27, exec_lo
.LBB5_243:                              ;   in Loop: Header=BB5_4 Depth=1
	s_or_b32 exec_lo, exec_lo, s25
	s_delay_alu instid0(SALU_CYCLE_1)
	s_and_b32 s25, s26, exec_lo
.LBB5_244:                              ;   in Loop: Header=BB5_4 Depth=1
	s_or_b32 exec_lo, exec_lo, s24
	s_delay_alu instid0(SALU_CYCLE_1)
	s_and_b32 s24, s25, exec_lo
.LBB5_245:                              ;   in Loop: Header=BB5_4 Depth=1
	s_or_b32 exec_lo, exec_lo, s23
	s_delay_alu instid0(SALU_CYCLE_1)
	s_and_b32 s23, s24, exec_lo
.LBB5_246:                              ;   in Loop: Header=BB5_4 Depth=1
	s_or_b32 exec_lo, exec_lo, s22
	s_delay_alu instid0(SALU_CYCLE_1)
	s_and_b32 s22, s23, exec_lo
.LBB5_247:                              ;   in Loop: Header=BB5_4 Depth=1
	s_or_b32 exec_lo, exec_lo, s21
	s_delay_alu instid0(SALU_CYCLE_1)
	s_and_b32 s21, s22, exec_lo
.LBB5_248:                              ;   in Loop: Header=BB5_4 Depth=1
	s_or_b32 exec_lo, exec_lo, s20
	s_delay_alu instid0(SALU_CYCLE_1)
	s_and_b32 s20, s21, exec_lo
.LBB5_249:                              ;   in Loop: Header=BB5_4 Depth=1
	s_or_b32 exec_lo, exec_lo, s19
	s_delay_alu instid0(SALU_CYCLE_1)
	s_and_b32 s19, s20, exec_lo
.LBB5_250:                              ;   in Loop: Header=BB5_4 Depth=1
	s_or_b32 exec_lo, exec_lo, s18
	s_delay_alu instid0(SALU_CYCLE_1)
	s_and_b32 s18, s19, exec_lo
.LBB5_251:                              ;   in Loop: Header=BB5_4 Depth=1
	s_or_b32 exec_lo, exec_lo, s17
	s_delay_alu instid0(SALU_CYCLE_1)
	s_and_b32 s17, s18, exec_lo
.LBB5_252:                              ;   in Loop: Header=BB5_4 Depth=1
	s_or_b32 exec_lo, exec_lo, s16
	s_delay_alu instid0(SALU_CYCLE_1)
	s_and_b32 s16, s17, exec_lo
.LBB5_253:                              ;   in Loop: Header=BB5_4 Depth=1
	s_or_b32 exec_lo, exec_lo, s13
	s_delay_alu instid0(SALU_CYCLE_1)
	s_and_b32 s13, s16, exec_lo
.LBB5_254:                              ;   in Loop: Header=BB5_4 Depth=1
	s_or_b32 exec_lo, exec_lo, s12
	s_delay_alu instid0(SALU_CYCLE_1)
	s_and_b32 s12, s13, exec_lo
.LBB5_255:                              ;   in Loop: Header=BB5_4 Depth=1
	s_or_b32 exec_lo, exec_lo, s11
	s_delay_alu instid0(SALU_CYCLE_1)
	s_and_b32 s11, s12, exec_lo
.LBB5_256:                              ;   in Loop: Header=BB5_4 Depth=1
	s_or_b32 exec_lo, exec_lo, s10
	s_delay_alu instid0(SALU_CYCLE_1)
	s_and_b32 s10, s11, exec_lo
.LBB5_257:                              ;   in Loop: Header=BB5_4 Depth=1
	s_or_b32 exec_lo, exec_lo, s8
	v_cndmask_b32_e64 v1, 0, 1, s10
	;;#ASMSTART
	;;#ASMEND
	s_delay_alu instid0(VALU_DEP_1)
	v_cmp_ne_u32_e32 vcc_lo, 0, v1
	s_mov_b32 s8, exec_lo
	s_and_saveexec_b32 s10, s0
	s_cbranch_execz .LBB5_3
; %bb.258:                              ;   in Loop: Header=BB5_4 Depth=1
	s_cmp_eq_u32 vcc_lo, s8
	s_cselect_b32 s8, -1, 0
	s_delay_alu instid0(SALU_CYCLE_1)
	v_cndmask_b32_e64 v1, 0, 1, s8
	ds_store_b32 v5, v1
	s_branch .LBB5_3
.LBB5_259:                              ;   in Loop: Header=BB5_4 Depth=1
                                        ; implicit-def: $sgpr5
	s_cbranch_execz .LBB5_4
.LBB5_260:
	s_mov_b32 s0, exec_lo
	v_cmpx_eq_u32_e32 0, v0
	s_cbranch_execz .LBB5_262
; %bb.261:
	s_mul_i32 s0, s1, s15
	v_dual_mov_b32 v0, 0 :: v_dual_mov_b32 v1, s2
	s_add_i32 s0, s0, s14
	s_delay_alu instid0(SALU_CYCLE_1) | instskip(NEXT) | instid1(SALU_CYCLE_1)
	s_ashr_i32 s1, s0, 31
	s_lshl_b64 s[0:1], s[0:1], 2
	s_delay_alu instid0(SALU_CYCLE_1)
	s_add_u32 s0, s6, s0
	s_addc_u32 s1, s7, s1
	global_store_b32 v0, v1, s[0:1]
.LBB5_262:
	s_nop 0
	s_sendmsg sendmsg(MSG_DEALLOC_VGPRS)
	s_endpgm
	.section	.rodata,"a",@progbits
	.p2align	6, 0x0
	.amdhsa_kernel _ZL25flash_attn_mask_to_KV_maxILi64EEvPK7__half2Piiii
		.amdhsa_group_segment_fixed_size 128
		.amdhsa_private_segment_fixed_size 0
		.amdhsa_kernarg_size 288
		.amdhsa_user_sgpr_count 14
		.amdhsa_user_sgpr_dispatch_ptr 0
		.amdhsa_user_sgpr_queue_ptr 0
		.amdhsa_user_sgpr_kernarg_segment_ptr 1
		.amdhsa_user_sgpr_dispatch_id 0
		.amdhsa_user_sgpr_private_segment_size 0
		.amdhsa_wavefront_size32 1
		.amdhsa_uses_dynamic_stack 0
		.amdhsa_enable_private_segment 0
		.amdhsa_system_sgpr_workgroup_id_x 1
		.amdhsa_system_sgpr_workgroup_id_y 1
		.amdhsa_system_sgpr_workgroup_id_z 0
		.amdhsa_system_sgpr_workgroup_info 0
		.amdhsa_system_vgpr_workitem_id 0
		.amdhsa_next_free_vgpr 11
		.amdhsa_next_free_sgpr 105
		.amdhsa_reserve_vcc 1
		.amdhsa_float_round_mode_32 0
		.amdhsa_float_round_mode_16_64 0
		.amdhsa_float_denorm_mode_32 3
		.amdhsa_float_denorm_mode_16_64 3
		.amdhsa_dx10_clamp 1
		.amdhsa_ieee_mode 1
		.amdhsa_fp16_overflow 0
		.amdhsa_workgroup_processor_mode 1
		.amdhsa_memory_ordered 1
		.amdhsa_forward_progress 0
		.amdhsa_shared_vgpr_count 0
		.amdhsa_exception_fp_ieee_invalid_op 0
		.amdhsa_exception_fp_denorm_src 0
		.amdhsa_exception_fp_ieee_div_zero 0
		.amdhsa_exception_fp_ieee_overflow 0
		.amdhsa_exception_fp_ieee_underflow 0
		.amdhsa_exception_fp_ieee_inexact 0
		.amdhsa_exception_int_div_zero 0
	.end_amdhsa_kernel
	.section	.text._ZL25flash_attn_mask_to_KV_maxILi64EEvPK7__half2Piiii,"axG",@progbits,_ZL25flash_attn_mask_to_KV_maxILi64EEvPK7__half2Piiii,comdat
.Lfunc_end5:
	.size	_ZL25flash_attn_mask_to_KV_maxILi64EEvPK7__half2Piiii, .Lfunc_end5-_ZL25flash_attn_mask_to_KV_maxILi64EEvPK7__half2Piiii
                                        ; -- End function
	.section	.AMDGPU.csdata,"",@progbits
; Kernel info:
; codeLenInByte = 9596
; NumSgprs: 107
; NumVgprs: 11
; ScratchSize: 0
; MemoryBound: 0
; FloatMode: 240
; IeeeMode: 1
; LDSByteSize: 128 bytes/workgroup (compile time only)
; SGPRBlocks: 13
; VGPRBlocks: 1
; NumSGPRsForWavesPerEU: 107
; NumVGPRsForWavesPerEU: 11
; Occupancy: 16
; WaveLimiterHint : 0
; COMPUTE_PGM_RSRC2:SCRATCH_EN: 0
; COMPUTE_PGM_RSRC2:USER_SGPR: 14
; COMPUTE_PGM_RSRC2:TRAP_HANDLER: 0
; COMPUTE_PGM_RSRC2:TGID_X_EN: 1
; COMPUTE_PGM_RSRC2:TGID_Y_EN: 1
; COMPUTE_PGM_RSRC2:TGID_Z_EN: 0
; COMPUTE_PGM_RSRC2:TIDIG_COMP_CNT: 0
	.section	.text._ZL33flash_attn_stream_k_fixup_uniformILi64ELi64ELi1EEvPfPK15HIP_vector_typeIfLj2EEiiiiiiS1_IjLj3EES5_S5_,"axG",@progbits,_ZL33flash_attn_stream_k_fixup_uniformILi64ELi64ELi1EEvPfPK15HIP_vector_typeIfLj2EEiiiiiiS1_IjLj3EES5_S5_,comdat
	.globl	_ZL33flash_attn_stream_k_fixup_uniformILi64ELi64ELi1EEvPfPK15HIP_vector_typeIfLj2EEiiiiiiS1_IjLj3EES5_S5_ ; -- Begin function _ZL33flash_attn_stream_k_fixup_uniformILi64ELi64ELi1EEvPfPK15HIP_vector_typeIfLj2EEiiiiiiS1_IjLj3EES5_S5_
	.p2align	8
	.type	_ZL33flash_attn_stream_k_fixup_uniformILi64ELi64ELi1EEvPfPK15HIP_vector_typeIfLj2EEiiiiiiS1_IjLj3EES5_S5_,@function
_ZL33flash_attn_stream_k_fixup_uniformILi64ELi64ELi1EEvPfPK15HIP_vector_typeIfLj2EEiiiiiiS1_IjLj3EES5_S5_: ; @_ZL33flash_attn_stream_k_fixup_uniformILi64ELi64ELi1EEvPfPK15HIP_vector_typeIfLj2EEiiiiiiS1_IjLj3EES5_S5_
; %bb.0:
	s_clause 0x1
	s_load_b256 s[4:11], s[0:1], 0x1c
	s_load_b128 s[16:19], s[0:1], 0x3c
	s_waitcnt lgkmcnt(0)
	s_mul_hi_u32 s2, s7, s13
	s_delay_alu instid0(SALU_CYCLE_1) | instskip(NEXT) | instid1(SALU_CYCLE_1)
	s_add_i32 s2, s13, s2
	s_lshr_b32 s2, s2, s8
	s_delay_alu instid0(SALU_CYCLE_1) | instskip(SKIP_2) | instid1(SALU_CYCLE_1)
	s_mul_i32 s3, s2, s9
	s_load_b64 s[8:9], s[0:1], 0x10
	s_sub_i32 s7, s13, s3
	s_mul_hi_u32 s3, s7, s10
	s_delay_alu instid0(SALU_CYCLE_1) | instskip(NEXT) | instid1(SALU_CYCLE_1)
	s_add_i32 s3, s7, s3
	s_lshr_b32 s3, s3, s11
	s_delay_alu instid0(SALU_CYCLE_1) | instskip(NEXT) | instid1(SALU_CYCLE_1)
	s_mul_i32 s10, s3, s16
	s_sub_i32 s10, s7, s10
	s_delay_alu instid0(SALU_CYCLE_1) | instskip(NEXT) | instid1(SALU_CYCLE_1)
	s_mul_hi_u32 s7, s10, s17
	s_add_i32 s7, s10, s7
	s_delay_alu instid0(SALU_CYCLE_1) | instskip(NEXT) | instid1(SALU_CYCLE_1)
	s_lshr_b32 s7, s7, s18
	s_mul_i32 s11, s7, s19
	s_delay_alu instid0(SALU_CYCLE_1) | instskip(NEXT) | instid1(SALU_CYCLE_1)
	s_sub_i32 s10, s10, s11
	s_lshl_b32 s11, s10, 6
	s_delay_alu instid0(SALU_CYCLE_1) | instskip(SKIP_4) | instid1(SALU_CYCLE_1)
	s_add_i32 s11, s11, s14
	s_waitcnt lgkmcnt(0)
	s_cmp_lt_i32 s11, s8
	s_cselect_b32 s11, -1, 0
	s_add_i32 s12, s7, s15
	s_cmp_lt_i32 s12, s5
	s_cselect_b32 s12, -1, 0
	s_delay_alu instid0(SALU_CYCLE_1) | instskip(NEXT) | instid1(SALU_CYCLE_1)
	s_and_b32 s11, s11, s12
	s_and_not1_b32 vcc_lo, exec_lo, s11
	s_cbranch_vccnz .LBB6_6
; %bb.1:
	s_mul_i32 s2, s2, s8
	s_mul_i32 s5, s3, s5
	s_add_i32 s2, s2, s14
	s_delay_alu instid0(SALU_CYCLE_1) | instskip(NEXT) | instid1(SALU_CYCLE_1)
	s_mul_i32 s2, s2, s9
	s_add_i32 s8, s2, s15
	s_load_b128 s[0:3], s[0:1], 0x0
	s_add_i32 s5, s8, s5
	s_mul_i32 s8, s9, s10
	s_add_i32 s5, s5, s7
	s_lshl_b32 s7, s8, 12
	s_lshl_b32 s5, s5, 6
	s_add_i32 s10, s14, s15
	s_add_i32 s7, s7, s5
	s_mul_i32 s5, s13, s6
	v_or_b32_e32 v1, s7, v0
	s_add_i32 s9, s5, s6
	s_delay_alu instid0(VALU_DEP_1) | instskip(NEXT) | instid1(VALU_DEP_1)
	v_ashrrev_i32_e32 v2, 31, v1
	v_lshlrev_b64 v[1:2], 2, v[1:2]
	s_waitcnt lgkmcnt(0)
	s_delay_alu instid0(VALU_DEP_1) | instskip(NEXT) | instid1(VALU_DEP_2)
	v_add_co_u32 v1, vcc_lo, s0, v1
	v_add_co_ci_u32_e32 v2, vcc_lo, s1, v2, vcc_lo
	s_lshl_b32 s0, s9, 6
	s_delay_alu instid0(SALU_CYCLE_1) | instskip(SKIP_2) | instid1(SALU_CYCLE_1)
	s_add_i32 s0, s10, s0
	global_load_b32 v5, v[1:2], off
	s_sub_i32 s0, s0, 64
	s_ashr_i32 s1, s0, 31
	s_delay_alu instid0(SALU_CYCLE_1) | instskip(NEXT) | instid1(SALU_CYCLE_1)
	s_lshl_b64 s[0:1], s[0:1], 3
	s_add_u32 s0, s2, s0
	s_addc_u32 s1, s3, s1
	s_add_i32 s7, s9, -2
	s_load_b32 s11, s[0:1], 0x4
	s_cmp_lt_i32 s7, s5
	s_cbranch_scc1 .LBB6_4
; %bb.2:
	s_lshl_b32 s14, s4, 8
	s_load_b32 s12, s[0:1], 0x0
	s_ashr_i32 s15, s14, 31
	s_delay_alu instid0(SALU_CYCLE_1) | instskip(NEXT) | instid1(SALU_CYCLE_1)
	s_lshl_b64 s[0:1], s[14:15], 2
	s_add_u32 s7, s2, s0
	s_addc_u32 s8, s3, s1
	s_add_i32 s13, s13, 1
	s_lshl_b32 s1, s10, 6
	s_mul_i32 s0, s6, s13
	s_delay_alu instid0(SALU_CYCLE_1)
	s_lshl_b32 s6, s0, 12
	s_lshl_b32 s0, s0, 6
	s_add_i32 s1, s1, s6
	s_add_i32 s0, s10, s0
	v_or_b32_e32 v0, s1, v0
	s_lshl_b32 s1, s4, 6
	s_waitcnt lgkmcnt(0)
	v_mov_b32_e32 v6, s11
	s_add_i32 s0, s0, s1
	s_add_i32 s4, s9, -1
	v_dual_mov_b32 v0, s12 :: v_dual_add_nc_u32 v3, 0xffffe000, v0
	s_addk_i32 s0, 0xff80
.LBB6_3:                                ; =>This Inner Loop Header: Depth=1
	s_delay_alu instid0(VALU_DEP_1) | instskip(SKIP_1) | instid1(SALU_CYCLE_1)
	v_ashrrev_i32_e32 v4, 31, v3
	s_ashr_i32 s1, s0, 31
	s_lshl_b64 s[10:11], s[0:1], 3
	s_delay_alu instid0(SALU_CYCLE_1) | instskip(NEXT) | instid1(VALU_DEP_1)
	s_add_u32 s10, s2, s10
	v_lshlrev_b64 v[7:8], 2, v[3:4]
	s_addc_u32 s11, s3, s11
	s_add_i32 s4, s4, -1
	s_sub_i32 s0, s0, 64
	s_cmp_le_i32 s4, s5
	s_load_b64 s[10:11], s[10:11], 0x0
	v_add_co_u32 v7, vcc_lo, s7, v7
	v_add_co_ci_u32_e32 v8, vcc_lo, s8, v8, vcc_lo
	global_load_b32 v4, v[7:8], off
	v_max_f32_e32 v7, v0, v0
	s_waitcnt lgkmcnt(0)
	v_max_f32_e64 v8, s10, s10
	s_delay_alu instid0(VALU_DEP_1) | instskip(NEXT) | instid1(VALU_DEP_1)
	v_max_f32_e32 v7, v7, v8
	v_sub_f32_e32 v8, s10, v7
	s_delay_alu instid0(VALU_DEP_1) | instskip(NEXT) | instid1(VALU_DEP_1)
	v_dual_sub_f32 v0, v0, v7 :: v_dual_mul_f32 v9, 0x3fb8aa3b, v8
	v_fma_f32 v10, 0x3fb8aa3b, v8, -v9
	v_rndne_f32_e32 v11, v9
	s_delay_alu instid0(VALU_DEP_3) | instskip(NEXT) | instid1(VALU_DEP_2)
	v_mul_f32_e32 v12, 0x3fb8aa3b, v0
	v_dual_fmac_f32 v10, 0x32a5705f, v8 :: v_dual_sub_f32 v9, v9, v11
	v_cvt_i32_f32_e32 v11, v11
	s_delay_alu instid0(VALU_DEP_3) | instskip(SKIP_1) | instid1(VALU_DEP_4)
	v_fma_f32 v13, 0x3fb8aa3b, v0, -v12
	v_rndne_f32_e32 v14, v12
	v_add_f32_e32 v9, v9, v10
	v_cmp_ngt_f32_e32 vcc_lo, 0xc2ce8ed0, v8
	s_delay_alu instid0(VALU_DEP_3) | instskip(NEXT) | instid1(VALU_DEP_3)
	v_sub_f32_e32 v10, v12, v14
	v_exp_f32_e32 v9, v9
	s_waitcnt_depctr 0xfff
	v_ldexp_f32 v9, v9, v11
	v_cvt_i32_f32_e32 v11, v14
	s_delay_alu instid0(VALU_DEP_2) | instskip(SKIP_1) | instid1(VALU_DEP_2)
	v_cndmask_b32_e32 v9, 0, v9, vcc_lo
	v_cmp_nlt_f32_e32 vcc_lo, 0x42b17218, v8
	v_cndmask_b32_e32 v9, 0x7f800000, v9, vcc_lo
	v_cmp_ngt_f32_e32 vcc_lo, 0xc2ce8ed0, v0
	v_fmac_f32_e32 v13, 0x32a5705f, v0
	s_delay_alu instid0(VALU_DEP_1) | instskip(NEXT) | instid1(VALU_DEP_1)
	v_add_f32_e32 v10, v10, v13
	v_exp_f32_e32 v10, v10
	s_waitcnt_depctr 0xfff
	v_ldexp_f32 v10, v10, v11
	s_delay_alu instid0(VALU_DEP_1)
	v_dual_mov_b32 v11, v6 :: v_dual_cndmask_b32 v10, 0, v10
	v_cmp_le_f32_e32 vcc_lo, 0xc1a00000, v8
	s_waitcnt vmcnt(1)
	v_dual_cndmask_b32 v8, 0, v9 :: v_dual_mov_b32 v9, v5
	v_cmp_nlt_f32_e32 vcc_lo, 0x42b17218, v0
	v_cndmask_b32_e32 v5, 0x7f800000, v10, vcc_lo
	s_delay_alu instid0(VALU_DEP_3) | instskip(SKIP_2) | instid1(VALU_DEP_3)
	v_mul_f32_e32 v10, s11, v8
	v_cmp_le_f32_e32 vcc_lo, 0xc1a00000, v0
	v_mov_b32_e32 v0, v7
	v_mov_b32_e32 v6, v10
	s_waitcnt vmcnt(0)
	v_dual_cndmask_b32 v12, 0, v5 :: v_dual_mul_f32 v5, v4, v8
	s_delay_alu instid0(VALU_DEP_1) | instskip(NEXT) | instid1(VALU_DEP_2)
	v_dual_fmac_f32 v6, v11, v12 :: v_dual_add_nc_u32 v3, 0xfffff000, v3
	v_fmac_f32_e32 v5, v9, v12
	s_cbranch_scc0 .LBB6_3
	s_branch .LBB6_5
.LBB6_4:
	s_waitcnt lgkmcnt(0)
	v_mov_b32_e32 v6, s11
.LBB6_5:
	s_waitcnt vmcnt(0)
	s_delay_alu instid0(VALU_DEP_1) | instskip(NEXT) | instid1(VALU_DEP_1)
	v_div_scale_f32 v0, null, v6, v6, v5
	v_rcp_f32_e32 v3, v0
	s_waitcnt_depctr 0xfff
	v_fma_f32 v4, -v0, v3, 1.0
	s_delay_alu instid0(VALU_DEP_1) | instskip(SKIP_1) | instid1(VALU_DEP_1)
	v_fmac_f32_e32 v3, v4, v3
	v_div_scale_f32 v4, vcc_lo, v5, v6, v5
	v_mul_f32_e32 v7, v4, v3
	s_delay_alu instid0(VALU_DEP_1) | instskip(NEXT) | instid1(VALU_DEP_1)
	v_fma_f32 v8, -v0, v7, v4
	v_fmac_f32_e32 v7, v8, v3
	s_delay_alu instid0(VALU_DEP_1) | instskip(NEXT) | instid1(VALU_DEP_1)
	v_fma_f32 v0, -v0, v7, v4
	v_div_fmas_f32 v0, v0, v3, v7
	s_delay_alu instid0(VALU_DEP_1)
	v_div_fixup_f32 v0, v0, v6, v5
	global_store_b32 v[1:2], v0, off
.LBB6_6:
	s_nop 0
	s_sendmsg sendmsg(MSG_DEALLOC_VGPRS)
	s_endpgm
	.section	.rodata,"a",@progbits
	.p2align	6, 0x0
	.amdhsa_kernel _ZL33flash_attn_stream_k_fixup_uniformILi64ELi64ELi1EEvPfPK15HIP_vector_typeIfLj2EEiiiiiiS1_IjLj3EES5_S5_
		.amdhsa_group_segment_fixed_size 0
		.amdhsa_private_segment_fixed_size 0
		.amdhsa_kernarg_size 76
		.amdhsa_user_sgpr_count 13
		.amdhsa_user_sgpr_dispatch_ptr 0
		.amdhsa_user_sgpr_queue_ptr 0
		.amdhsa_user_sgpr_kernarg_segment_ptr 1
		.amdhsa_user_sgpr_dispatch_id 0
		.amdhsa_user_sgpr_private_segment_size 0
		.amdhsa_wavefront_size32 1
		.amdhsa_uses_dynamic_stack 0
		.amdhsa_enable_private_segment 0
		.amdhsa_system_sgpr_workgroup_id_x 1
		.amdhsa_system_sgpr_workgroup_id_y 1
		.amdhsa_system_sgpr_workgroup_id_z 1
		.amdhsa_system_sgpr_workgroup_info 0
		.amdhsa_system_vgpr_workitem_id 0
		.amdhsa_next_free_vgpr 15
		.amdhsa_next_free_sgpr 20
		.amdhsa_reserve_vcc 1
		.amdhsa_float_round_mode_32 0
		.amdhsa_float_round_mode_16_64 0
		.amdhsa_float_denorm_mode_32 3
		.amdhsa_float_denorm_mode_16_64 3
		.amdhsa_dx10_clamp 1
		.amdhsa_ieee_mode 1
		.amdhsa_fp16_overflow 0
		.amdhsa_workgroup_processor_mode 1
		.amdhsa_memory_ordered 1
		.amdhsa_forward_progress 0
		.amdhsa_shared_vgpr_count 0
		.amdhsa_exception_fp_ieee_invalid_op 0
		.amdhsa_exception_fp_denorm_src 0
		.amdhsa_exception_fp_ieee_div_zero 0
		.amdhsa_exception_fp_ieee_overflow 0
		.amdhsa_exception_fp_ieee_underflow 0
		.amdhsa_exception_fp_ieee_inexact 0
		.amdhsa_exception_int_div_zero 0
	.end_amdhsa_kernel
	.section	.text._ZL33flash_attn_stream_k_fixup_uniformILi64ELi64ELi1EEvPfPK15HIP_vector_typeIfLj2EEiiiiiiS1_IjLj3EES5_S5_,"axG",@progbits,_ZL33flash_attn_stream_k_fixup_uniformILi64ELi64ELi1EEvPfPK15HIP_vector_typeIfLj2EEiiiiiiS1_IjLj3EES5_S5_,comdat
.Lfunc_end6:
	.size	_ZL33flash_attn_stream_k_fixup_uniformILi64ELi64ELi1EEvPfPK15HIP_vector_typeIfLj2EEiiiiiiS1_IjLj3EES5_S5_, .Lfunc_end6-_ZL33flash_attn_stream_k_fixup_uniformILi64ELi64ELi1EEvPfPK15HIP_vector_typeIfLj2EEiiiiiiS1_IjLj3EES5_S5_
                                        ; -- End function
	.section	.AMDGPU.csdata,"",@progbits
; Kernel info:
; codeLenInByte = 976
; NumSgprs: 22
; NumVgprs: 15
; ScratchSize: 0
; MemoryBound: 0
; FloatMode: 240
; IeeeMode: 1
; LDSByteSize: 0 bytes/workgroup (compile time only)
; SGPRBlocks: 2
; VGPRBlocks: 1
; NumSGPRsForWavesPerEU: 22
; NumVGPRsForWavesPerEU: 15
; Occupancy: 16
; WaveLimiterHint : 0
; COMPUTE_PGM_RSRC2:SCRATCH_EN: 0
; COMPUTE_PGM_RSRC2:USER_SGPR: 13
; COMPUTE_PGM_RSRC2:TRAP_HANDLER: 0
; COMPUTE_PGM_RSRC2:TGID_X_EN: 1
; COMPUTE_PGM_RSRC2:TGID_Y_EN: 1
; COMPUTE_PGM_RSRC2:TGID_Z_EN: 1
; COMPUTE_PGM_RSRC2:TIDIG_COMP_CNT: 0
	.section	.text._ZL33flash_attn_stream_k_fixup_generalILi64ELi64ELi1EEvPfPK15HIP_vector_typeIfLj2EEiiiiS1_IjLj3EES5_S5_S5_,"axG",@progbits,_ZL33flash_attn_stream_k_fixup_generalILi64ELi64ELi1EEvPfPK15HIP_vector_typeIfLj2EEiiiiS1_IjLj3EES5_S5_S5_,comdat
	.globl	_ZL33flash_attn_stream_k_fixup_generalILi64ELi64ELi1EEvPfPK15HIP_vector_typeIfLj2EEiiiiS1_IjLj3EES5_S5_S5_ ; -- Begin function _ZL33flash_attn_stream_k_fixup_generalILi64ELi64ELi1EEvPfPK15HIP_vector_typeIfLj2EEiiiiS1_IjLj3EES5_S5_S5_
	.p2align	8
	.type	_ZL33flash_attn_stream_k_fixup_generalILi64ELi64ELi1EEvPfPK15HIP_vector_typeIfLj2EEiiiiS1_IjLj3EES5_S5_S5_,@function
_ZL33flash_attn_stream_k_fixup_generalILi64ELi64ELi1EEvPfPK15HIP_vector_typeIfLj2EEiiiiS1_IjLj3EES5_S5_S5_: ; @_ZL33flash_attn_stream_k_fixup_generalILi64ELi64ELi1EEvPfPK15HIP_vector_typeIfLj2EEiiiiS1_IjLj3EES5_S5_S5_
; %bb.0:
	s_clause 0x1
	s_load_b128 s[4:7], s[0:1], 0x10
	s_load_b32 s20, s[0:1], 0x50
	s_mov_b32 s2, 0
	s_waitcnt lgkmcnt(0)
	s_mul_hi_i32 s3, s7, s13
	s_mul_i32 s12, s7, s13
	s_cmp_lg_u64 s[2:3], 0
	s_cbranch_scc0 .LBB7_21
; %bb.1:
	v_cvt_f32_ubyte0_e32 v1, 0
	v_cvt_f32_u32_e32 v2, s20
	s_sub_u32 s10, 0, s20
	s_subb_u32 s11, 0, 0
	s_delay_alu instid0(VALU_DEP_1) | instskip(NEXT) | instid1(VALU_DEP_1)
	v_fmamk_f32 v1, v1, 0x4f800000, v2
	v_rcp_f32_e32 v1, v1
	s_waitcnt_depctr 0xfff
	v_mul_f32_e32 v1, 0x5f7ffffc, v1
	s_delay_alu instid0(VALU_DEP_1) | instskip(NEXT) | instid1(VALU_DEP_1)
	v_mul_f32_e32 v2, 0x2f800000, v1
	v_trunc_f32_e32 v2, v2
	s_delay_alu instid0(VALU_DEP_1) | instskip(SKIP_1) | instid1(VALU_DEP_2)
	v_fmamk_f32 v1, v2, 0xcf800000, v1
	v_cvt_u32_f32_e32 v2, v2
	v_cvt_u32_f32_e32 v1, v1
	s_delay_alu instid0(VALU_DEP_2) | instskip(NEXT) | instid1(VALU_DEP_2)
	v_readfirstlane_b32 s8, v2
	v_readfirstlane_b32 s9, v1
	s_delay_alu instid0(VALU_DEP_2) | instskip(NEXT) | instid1(VALU_DEP_1)
	s_mul_i32 s16, s10, s8
	s_mul_hi_u32 s18, s10, s9
	s_mul_i32 s17, s11, s9
	s_add_i32 s16, s18, s16
	s_mul_i32 s19, s10, s9
	s_add_i32 s16, s16, s17
	s_mul_hi_u32 s18, s9, s19
	s_mul_hi_u32 s21, s8, s19
	s_mul_i32 s17, s8, s19
	s_mul_hi_u32 s19, s9, s16
	s_mul_i32 s9, s9, s16
	s_mul_hi_u32 s22, s8, s16
	s_add_u32 s9, s18, s9
	s_addc_u32 s18, 0, s19
	s_add_u32 s9, s9, s17
	s_mul_i32 s16, s8, s16
	s_addc_u32 s9, s18, s21
	s_addc_u32 s17, s22, 0
	s_add_u32 s9, s9, s16
	s_addc_u32 s16, 0, s17
	v_add_co_u32 v1, s9, v1, s9
	s_delay_alu instid0(VALU_DEP_1) | instskip(SKIP_1) | instid1(VALU_DEP_1)
	s_cmp_lg_u32 s9, 0
	s_addc_u32 s8, s8, s16
	v_readfirstlane_b32 s9, v1
	s_mul_i32 s16, s10, s8
	s_delay_alu instid0(VALU_DEP_1)
	s_mul_hi_u32 s17, s10, s9
	s_mul_i32 s11, s11, s9
	s_add_i32 s16, s17, s16
	s_mul_i32 s10, s10, s9
	s_add_i32 s16, s16, s11
	s_mul_hi_u32 s17, s8, s10
	s_mul_i32 s18, s8, s10
	s_mul_hi_u32 s10, s9, s10
	s_mul_hi_u32 s19, s9, s16
	s_mul_i32 s9, s9, s16
	s_mul_hi_u32 s11, s8, s16
	s_add_u32 s9, s10, s9
	s_addc_u32 s10, 0, s19
	s_add_u32 s9, s9, s18
	s_mul_i32 s16, s8, s16
	s_addc_u32 s9, s10, s17
	s_addc_u32 s10, s11, 0
	s_add_u32 s9, s9, s16
	s_addc_u32 s10, 0, s10
	v_add_co_u32 v1, s9, v1, s9
	s_delay_alu instid0(VALU_DEP_1) | instskip(SKIP_2) | instid1(SALU_CYCLE_1)
	s_cmp_lg_u32 s9, 0
	s_addc_u32 s16, s8, s10
	s_ashr_i32 s8, s3, 31
	s_add_u32 s10, s12, s8
	s_addc_u32 s11, s3, s8
	v_readfirstlane_b32 s3, v1
	s_mov_b32 s9, s8
	s_delay_alu instid0(SALU_CYCLE_1) | instskip(NEXT) | instid1(SALU_CYCLE_1)
	s_xor_b64 s[10:11], s[10:11], s[8:9]
	s_mul_i32 s18, s10, s16
	s_delay_alu instid0(VALU_DEP_1)
	s_mul_hi_u32 s19, s10, s3
	s_mul_hi_u32 s17, s10, s16
	;; [unrolled: 1-line block ×3, first 2 shown]
	s_mul_i32 s3, s11, s3
	s_add_u32 s18, s19, s18
	s_addc_u32 s17, 0, s17
	s_mul_hi_u32 s21, s11, s16
	s_add_u32 s3, s18, s3
	s_mul_i32 s16, s11, s16
	s_addc_u32 s3, s17, s22
	s_addc_u32 s17, s21, 0
	s_add_u32 s3, s3, s16
	s_addc_u32 s16, 0, s17
	s_mul_i32 s18, s20, s3
	s_add_u32 s17, s3, 1
	v_sub_co_u32 v1, s10, s10, s18
	s_mul_hi_u32 s18, s20, s3
	s_addc_u32 s19, s16, 0
	s_mul_i32 s21, s20, s16
	s_delay_alu instid0(VALU_DEP_1)
	v_sub_co_u32 v2, s22, v1, s20
	s_add_u32 s23, s3, 2
	s_addc_u32 s24, s16, 0
	s_add_i32 s18, s18, s21
	s_cmp_lg_u32 s10, 0
	v_readfirstlane_b32 s10, v2
	s_subb_u32 s11, s11, s18
	s_cmp_lg_u32 s22, 0
	s_subb_u32 s18, s11, 0
	s_delay_alu instid0(VALU_DEP_1) | instskip(SKIP_4) | instid1(SALU_CYCLE_1)
	s_cmp_ge_u32 s10, s20
	s_cselect_b32 s10, -1, 0
	s_cmp_eq_u32 s18, 0
	v_readfirstlane_b32 s18, v1
	s_cselect_b32 s10, s10, -1
	s_cmp_lg_u32 s10, 0
	s_cselect_b32 s10, s23, s17
	s_cselect_b32 s17, s24, s19
	s_cmp_ge_u32 s18, s20
	s_cselect_b32 s18, -1, 0
	s_cmp_eq_u32 s11, 0
	s_cselect_b32 s11, s18, -1
	s_delay_alu instid0(SALU_CYCLE_1) | instskip(SKIP_2) | instid1(SALU_CYCLE_1)
	s_cmp_lg_u32 s11, 0
	s_cselect_b32 s11, s17, s16
	s_cselect_b32 s10, s10, s3
	s_xor_b64 s[10:11], s[10:11], s[8:9]
	s_delay_alu instid0(SALU_CYCLE_1)
	s_sub_u32 s16, s10, s8
	s_load_b128 s[8:11], s[0:1], 0x44
	s_and_not1_b32 vcc_lo, exec_lo, s2
	s_cbranch_vccnz .LBB7_3
.LBB7_2:
	v_cvt_f32_u32_e32 v1, s20
	s_sub_i32 s3, 0, s20
	s_delay_alu instid0(VALU_DEP_1) | instskip(SKIP_2) | instid1(VALU_DEP_1)
	v_rcp_iflag_f32_e32 v1, v1
	s_waitcnt_depctr 0xfff
	v_mul_f32_e32 v1, 0x4f7ffffe, v1
	v_cvt_u32_f32_e32 v1, v1
	s_delay_alu instid0(VALU_DEP_1) | instskip(NEXT) | instid1(VALU_DEP_1)
	v_readfirstlane_b32 s2, v1
	s_mul_i32 s3, s3, s2
	s_delay_alu instid0(SALU_CYCLE_1) | instskip(NEXT) | instid1(SALU_CYCLE_1)
	s_mul_hi_u32 s3, s2, s3
	s_add_i32 s2, s2, s3
	s_delay_alu instid0(SALU_CYCLE_1) | instskip(NEXT) | instid1(SALU_CYCLE_1)
	s_mul_hi_u32 s2, s12, s2
	s_mul_i32 s3, s2, s20
	s_waitcnt lgkmcnt(0)
	s_add_i32 s11, s2, 1
	s_sub_i32 s3, s12, s3
	s_delay_alu instid0(SALU_CYCLE_1)
	s_sub_i32 s12, s3, s20
	s_cmp_ge_u32 s3, s20
	s_cselect_b32 s2, s11, s2
	s_cselect_b32 s3, s12, s3
	s_add_i32 s11, s2, 1
	s_cmp_ge_u32 s3, s20
	s_cselect_b32 s16, s11, s2
.LBB7_3:
	s_waitcnt lgkmcnt(0)
	s_add_i32 s11, s13, 1
	s_mov_b32 s2, 0
	s_mul_hi_i32 s3, s7, s11
	s_mul_i32 s11, s7, s11
	s_cmp_lg_u64 s[2:3], 0
	s_cbranch_scc0 .LBB7_22
; %bb.4:
	v_cvt_f32_ubyte0_e32 v1, 0
	v_cvt_f32_u32_e32 v2, s20
	s_sub_u32 s18, 0, s20
	s_subb_u32 s19, 0, 0
	s_delay_alu instid0(VALU_DEP_1) | instskip(NEXT) | instid1(VALU_DEP_1)
	v_fmamk_f32 v1, v1, 0x4f800000, v2
	v_rcp_f32_e32 v1, v1
	s_waitcnt_depctr 0xfff
	v_mul_f32_e32 v1, 0x5f7ffffc, v1
	s_delay_alu instid0(VALU_DEP_1) | instskip(NEXT) | instid1(VALU_DEP_1)
	v_mul_f32_e32 v2, 0x2f800000, v1
	v_trunc_f32_e32 v2, v2
	s_delay_alu instid0(VALU_DEP_1) | instskip(SKIP_1) | instid1(VALU_DEP_2)
	v_fmamk_f32 v1, v2, 0xcf800000, v1
	v_cvt_u32_f32_e32 v2, v2
	v_cvt_u32_f32_e32 v1, v1
	s_delay_alu instid0(VALU_DEP_2) | instskip(NEXT) | instid1(VALU_DEP_2)
	v_readfirstlane_b32 s12, v2
	v_readfirstlane_b32 s17, v1
	s_delay_alu instid0(VALU_DEP_2) | instskip(NEXT) | instid1(VALU_DEP_1)
	s_mul_i32 s21, s18, s12
	s_mul_hi_u32 s23, s18, s17
	s_mul_i32 s22, s19, s17
	s_add_i32 s21, s23, s21
	s_mul_i32 s24, s18, s17
	s_add_i32 s21, s21, s22
	s_mul_hi_u32 s23, s17, s24
	s_mul_hi_u32 s25, s12, s24
	s_mul_i32 s22, s12, s24
	s_mul_hi_u32 s24, s17, s21
	s_mul_i32 s17, s17, s21
	s_mul_hi_u32 s26, s12, s21
	s_add_u32 s17, s23, s17
	s_addc_u32 s23, 0, s24
	s_add_u32 s17, s17, s22
	s_mul_i32 s21, s12, s21
	s_addc_u32 s17, s23, s25
	s_addc_u32 s22, s26, 0
	s_add_u32 s17, s17, s21
	s_addc_u32 s21, 0, s22
	v_add_co_u32 v1, s17, v1, s17
	s_delay_alu instid0(VALU_DEP_1) | instskip(SKIP_1) | instid1(VALU_DEP_1)
	s_cmp_lg_u32 s17, 0
	s_addc_u32 s12, s12, s21
	v_readfirstlane_b32 s17, v1
	s_mul_i32 s21, s18, s12
	s_delay_alu instid0(VALU_DEP_1)
	s_mul_hi_u32 s22, s18, s17
	s_mul_i32 s19, s19, s17
	s_add_i32 s21, s22, s21
	s_mul_i32 s18, s18, s17
	s_add_i32 s21, s21, s19
	s_mul_hi_u32 s22, s12, s18
	s_mul_i32 s23, s12, s18
	s_mul_hi_u32 s18, s17, s18
	s_mul_hi_u32 s24, s17, s21
	s_mul_i32 s17, s17, s21
	s_mul_hi_u32 s19, s12, s21
	s_add_u32 s17, s18, s17
	s_addc_u32 s18, 0, s24
	s_add_u32 s17, s17, s23
	s_mul_i32 s21, s12, s21
	s_addc_u32 s17, s18, s22
	s_addc_u32 s18, s19, 0
	s_add_u32 s17, s17, s21
	s_addc_u32 s18, 0, s18
	v_add_co_u32 v1, s17, v1, s17
	s_delay_alu instid0(VALU_DEP_1) | instskip(SKIP_2) | instid1(SALU_CYCLE_1)
	s_cmp_lg_u32 s17, 0
	s_addc_u32 s12, s12, s18
	s_ashr_i32 s18, s3, 31
	s_add_u32 s22, s11, s18
	s_addc_u32 s23, s3, s18
	v_readfirstlane_b32 s3, v1
	s_mov_b32 s19, s18
	s_delay_alu instid0(SALU_CYCLE_1) | instskip(NEXT) | instid1(SALU_CYCLE_1)
	s_xor_b64 s[22:23], s[22:23], s[18:19]
	s_mul_i32 s21, s22, s12
	s_delay_alu instid0(VALU_DEP_1)
	s_mul_hi_u32 s24, s22, s3
	s_mul_hi_u32 s17, s22, s12
	;; [unrolled: 1-line block ×3, first 2 shown]
	s_mul_i32 s3, s23, s3
	s_add_u32 s21, s24, s21
	s_addc_u32 s17, 0, s17
	s_mul_hi_u32 s25, s23, s12
	s_add_u32 s3, s21, s3
	s_mul_i32 s12, s23, s12
	s_addc_u32 s3, s17, s26
	s_addc_u32 s17, s25, 0
	s_add_u32 s3, s3, s12
	s_addc_u32 s12, 0, s17
	s_mul_i32 s21, s20, s3
	s_add_u32 s17, s3, 1
	v_sub_co_u32 v1, s21, s22, s21
	s_mul_hi_u32 s22, s20, s3
	s_addc_u32 s24, s12, 0
	s_mul_i32 s25, s20, s12
	s_delay_alu instid0(VALU_DEP_1)
	v_sub_co_u32 v2, s26, v1, s20
	s_add_u32 s27, s3, 2
	s_addc_u32 s28, s12, 0
	s_add_i32 s22, s22, s25
	s_cmp_lg_u32 s21, 0
	v_readfirstlane_b32 s21, v2
	s_subb_u32 s22, s23, s22
	s_cmp_lg_u32 s26, 0
	s_subb_u32 s23, s22, 0
	s_delay_alu instid0(VALU_DEP_1) | instskip(SKIP_4) | instid1(SALU_CYCLE_1)
	s_cmp_ge_u32 s21, s20
	s_cselect_b32 s21, -1, 0
	s_cmp_eq_u32 s23, 0
	v_readfirstlane_b32 s23, v1
	s_cselect_b32 s21, s21, -1
	s_cmp_lg_u32 s21, 0
	s_cselect_b32 s17, s27, s17
	s_cselect_b32 s21, s28, s24
	s_cmp_ge_u32 s23, s20
	s_cselect_b32 s23, -1, 0
	s_cmp_eq_u32 s22, 0
	s_cselect_b32 s22, s23, -1
	s_delay_alu instid0(SALU_CYCLE_1) | instskip(SKIP_2) | instid1(SALU_CYCLE_1)
	s_cmp_lg_u32 s22, 0
	s_cselect_b32 s23, s21, s12
	s_cselect_b32 s22, s17, s3
	s_xor_b64 s[22:23], s[22:23], s[18:19]
	s_delay_alu instid0(SALU_CYCLE_1)
	s_sub_u32 s18, s22, s18
	s_and_not1_b32 vcc_lo, exec_lo, s2
	s_cbranch_vccnz .LBB7_6
.LBB7_5:
	v_cvt_f32_u32_e32 v1, s20
	s_sub_i32 s3, 0, s20
	s_delay_alu instid0(VALU_DEP_1) | instskip(SKIP_2) | instid1(VALU_DEP_1)
	v_rcp_iflag_f32_e32 v1, v1
	s_waitcnt_depctr 0xfff
	v_mul_f32_e32 v1, 0x4f7ffffe, v1
	v_cvt_u32_f32_e32 v1, v1
	s_delay_alu instid0(VALU_DEP_1) | instskip(NEXT) | instid1(VALU_DEP_1)
	v_readfirstlane_b32 s2, v1
	s_mul_i32 s3, s3, s2
	s_delay_alu instid0(SALU_CYCLE_1) | instskip(NEXT) | instid1(SALU_CYCLE_1)
	s_mul_hi_u32 s3, s2, s3
	s_add_i32 s2, s2, s3
	s_delay_alu instid0(SALU_CYCLE_1) | instskip(NEXT) | instid1(SALU_CYCLE_1)
	s_mul_hi_u32 s2, s11, s2
	s_mul_i32 s3, s2, s20
	s_delay_alu instid0(SALU_CYCLE_1)
	s_sub_i32 s3, s11, s3
	s_add_i32 s11, s2, 1
	s_sub_i32 s12, s3, s20
	s_cmp_ge_u32 s3, s20
	s_cselect_b32 s2, s11, s2
	s_cselect_b32 s3, s12, s3
	s_add_i32 s11, s2, 1
	s_cmp_ge_u32 s3, s20
	s_cselect_b32 s18, s11, s2
.LBB7_6:
	s_delay_alu instid0(SALU_CYCLE_1) | instskip(SKIP_3) | instid1(SALU_CYCLE_1)
	s_cmp_eq_u32 s16, s18
	s_mul_hi_u32 s2, s16, s8
	s_cselect_b32 s3, -1, 0
	s_add_i32 s2, s2, s16
	s_lshr_b32 s11, s2, s9
	s_delay_alu instid0(SALU_CYCLE_1) | instskip(NEXT) | instid1(SALU_CYCLE_1)
	s_mul_i32 s2, s11, s10
	s_cmp_eq_u32 s2, s16
	s_mul_hi_u32 s2, s18, s8
	s_cselect_b32 s12, -1, 0
	s_add_i32 s2, s2, s18
	s_delay_alu instid0(SALU_CYCLE_1) | instskip(NEXT) | instid1(SALU_CYCLE_1)
	s_lshr_b32 s2, s2, s9
	s_cmp_eq_u32 s11, s2
	s_mul_i32 s2, s2, s10
	s_cselect_b32 s17, -1, 0
	s_cmp_lg_u32 s2, s18
	s_cselect_b32 s2, -1, 0
	s_or_b32 s3, s3, s12
	s_and_b32 s2, s17, s2
	s_delay_alu instid0(SALU_CYCLE_1) | instskip(NEXT) | instid1(SALU_CYCLE_1)
	s_or_b32 s2, s3, s2
	s_and_b32 vcc_lo, exec_lo, s2
	s_cbranch_vccnz .LBB7_24
; %bb.7:
	s_load_b256 s[24:31], s[0:1], 0x20
	s_waitcnt lgkmcnt(0)
	s_mul_hi_u32 s2, s16, s24
	s_delay_alu instid0(SALU_CYCLE_1) | instskip(NEXT) | instid1(SALU_CYCLE_1)
	s_add_i32 s2, s2, s16
	s_lshr_b32 s18, s2, s25
	s_load_b32 s2, s[0:1], 0x40
	s_mul_i32 s3, s18, s26
	s_delay_alu instid0(SALU_CYCLE_1) | instskip(NEXT) | instid1(SALU_CYCLE_1)
	s_sub_i32 s3, s16, s3
	s_mul_hi_u32 s12, s3, s27
	s_delay_alu instid0(SALU_CYCLE_1) | instskip(NEXT) | instid1(SALU_CYCLE_1)
	s_add_i32 s12, s3, s12
	s_lshr_b32 s21, s12, s28
	s_delay_alu instid0(SALU_CYCLE_1) | instskip(NEXT) | instid1(SALU_CYCLE_1)
	s_mul_i32 s12, s21, s29
	s_sub_i32 s3, s3, s12
	s_delay_alu instid0(SALU_CYCLE_1) | instskip(NEXT) | instid1(SALU_CYCLE_1)
	s_mul_hi_u32 s12, s3, s30
	s_add_i32 s12, s3, s12
	s_delay_alu instid0(SALU_CYCLE_1) | instskip(SKIP_3) | instid1(SALU_CYCLE_1)
	s_lshr_b32 s22, s12, s31
	s_mov_b32 s12, 0
	s_waitcnt lgkmcnt(0)
	s_mul_i32 s2, s22, s2
	s_sub_i32 s2, s3, s2
	s_delay_alu instid0(SALU_CYCLE_1) | instskip(NEXT) | instid1(SALU_CYCLE_1)
	s_mul_hi_u32 s3, s2, s8
	s_add_i32 s2, s2, s3
	s_delay_alu instid0(SALU_CYCLE_1) | instskip(NEXT) | instid1(SALU_CYCLE_1)
	s_lshr_b32 s23, s2, s9
	s_lshl_b32 s2, s23, 6
	s_delay_alu instid0(SALU_CYCLE_1) | instskip(NEXT) | instid1(SALU_CYCLE_1)
	s_add_i32 s2, s2, s14
	s_cmp_lt_i32 s2, s4
	s_cselect_b32 s2, -1, 0
	s_add_i32 s3, s22, s15
	s_delay_alu instid0(SALU_CYCLE_1) | instskip(SKIP_1) | instid1(SALU_CYCLE_1)
	s_cmp_lt_i32 s3, s6
	s_cselect_b32 s3, -1, 0
	s_and_b32 s2, s2, s3
	s_delay_alu instid0(SALU_CYCLE_1)
	s_and_not1_b32 vcc_lo, exec_lo, s2
	s_cbranch_vccnz .LBB7_24
; %bb.8:
	s_load_b128 s[0:3], s[0:1], 0x0
	s_lshl_b32 s24, s20, 8
	s_mov_b32 s25, s12
	s_add_i32 s17, s14, s15
	s_lshl_b64 s[24:25], s[24:25], 2
	s_mul_i32 s4, s18, s4
	s_mul_i32 s21, s21, s6
	v_cvt_f32_ubyte0_e32 v4, 0
	v_cvt_f32_u32_e32 v5, s20
	s_waitcnt lgkmcnt(0)
	s_add_u32 s18, s2, s24
	s_addc_u32 s19, s3, s25
	s_add_i32 s4, s4, s14
	s_delay_alu instid0(SALU_CYCLE_1) | instskip(SKIP_4) | instid1(SALU_CYCLE_1)
	s_mul_i32 s4, s4, s5
	s_mul_i32 s5, s5, s23
	s_add_i32 s4, s4, s15
	s_lshl_b32 s5, s5, 12
	s_add_i32 s4, s4, s21
	s_add_i32 s4, s4, s22
	s_delay_alu instid0(SALU_CYCLE_1) | instskip(NEXT) | instid1(SALU_CYCLE_1)
	s_lshl_b32 s4, s4, 6
	s_add_i32 s5, s5, s4
	s_delay_alu instid0(SALU_CYCLE_1) | instskip(SKIP_1) | instid1(VALU_DEP_2)
	v_or_b32_e32 v1, s5, v0
	v_lshl_or_b32 v0, s17, 6, v0
	v_ashrrev_i32_e32 v2, 31, v1
	s_delay_alu instid0(VALU_DEP_1) | instskip(NEXT) | instid1(VALU_DEP_1)
	v_lshlrev_b64 v[1:2], 2, v[1:2]
	v_add_co_u32 v1, vcc_lo, s0, v1
	s_delay_alu instid0(VALU_DEP_2) | instskip(SKIP_1) | instid1(SALU_CYCLE_1)
	v_add_co_ci_u32_e32 v2, vcc_lo, s1, v2, vcc_lo
	s_lshl_b32 s0, s13, 6
	s_add_i32 s0, s0, s17
	global_load_b32 v3, v[1:2], off
	s_ashr_i32 s1, s0, 31
	s_delay_alu instid0(SALU_CYCLE_1) | instskip(NEXT) | instid1(SALU_CYCLE_1)
	s_lshl_b64 s[0:1], s[0:1], 3
	s_add_u32 s0, s2, s0
	s_addc_u32 s1, s3, s1
	s_add_i32 s14, s13, -1
	s_load_b64 s[0:1], s[0:1], 0x0
	v_fmac_f32_e32 v5, 0x4f800000, v4
	s_sub_i32 s6, 0, s20
	s_waitcnt lgkmcnt(0)
	v_mov_b32_e32 v8, s0
	s_delay_alu instid0(VALU_DEP_2) | instskip(SKIP_2) | instid1(VALU_DEP_2)
	v_rcp_f32_e32 v4, v5
	v_cvt_f32_u32_e32 v5, s20
	v_mov_b32_e32 v7, s1
	v_rcp_iflag_f32_e32 v5, v5
	s_waitcnt_depctr 0xfff
	v_mul_f32_e32 v4, 0x5f7ffffc, v4
	s_delay_alu instid0(VALU_DEP_1) | instskip(SKIP_1) | instid1(VALU_DEP_2)
	v_mul_f32_e32 v6, 0x2f800000, v4
	v_mul_f32_e32 v9, 0x4f7ffffe, v5
	v_trunc_f32_e32 v6, v6
	s_delay_alu instid0(VALU_DEP_1) | instskip(SKIP_1) | instid1(VALU_DEP_4)
	v_fmac_f32_e32 v4, 0xcf800000, v6
	v_cvt_u32_f32_e32 v5, v6
	v_cvt_u32_f32_e32 v6, v9
	s_delay_alu instid0(VALU_DEP_3)
	v_cvt_u32_f32_e32 v4, v4
.LBB7_9:                                ; =>This Inner Loop Header: Depth=1
	s_mul_hi_i32 s13, s14, s7
	s_mul_i32 s4, s14, s7
	s_cmp_lg_u64 s[12:13], 0
	s_mov_b32 s5, -1
                                        ; implicit-def: $sgpr0_sgpr1
	s_cbranch_scc0 .LBB7_11
; %bb.10:                               ;   in Loop: Header=BB7_9 Depth=1
	v_readfirstlane_b32 s0, v4
	v_readfirstlane_b32 s1, v5
	s_sub_u32 s5, 0, s20
	s_subb_u32 s15, 0, 0
	s_delay_alu instid0(VALU_DEP_2) | instskip(NEXT) | instid1(VALU_DEP_1)
	s_mul_hi_u32 s21, s5, s0
	s_mul_i32 s22, s5, s1
	s_mul_i32 s23, s15, s0
	s_add_i32 s21, s21, s22
	s_mul_i32 s22, s5, s0
	s_add_i32 s21, s21, s23
	s_mul_hi_u32 s23, s0, s22
	s_mul_i32 s24, s0, s21
	s_mul_hi_u32 s0, s0, s21
	s_add_u32 s23, s23, s24
	s_mul_i32 s25, s1, s22
	s_addc_u32 s0, 0, s0
	s_mul_hi_u32 s22, s1, s22
	s_mul_hi_u32 s24, s1, s21
	s_add_u32 s23, s23, s25
	s_addc_u32 s0, s0, s22
	s_mul_i32 s21, s1, s21
	s_addc_u32 s22, s24, 0
	s_add_u32 s0, s0, s21
	s_addc_u32 s21, 0, s22
	v_add_co_u32 v9, s0, v4, s0
	s_delay_alu instid0(VALU_DEP_1) | instskip(SKIP_1) | instid1(VALU_DEP_1)
	s_cmp_lg_u32 s0, 0
	s_addc_u32 s1, s1, s21
	v_readfirstlane_b32 s0, v9
	s_mul_i32 s21, s5, s1
	s_delay_alu instid0(VALU_DEP_1)
	s_mul_hi_u32 s22, s5, s0
	s_mul_i32 s15, s15, s0
	s_add_i32 s21, s22, s21
	s_mul_i32 s5, s5, s0
	s_add_i32 s21, s21, s15
	s_mul_hi_u32 s15, s1, s5
	s_mul_i32 s23, s1, s5
	s_mul_i32 s24, s0, s21
	s_mul_hi_u32 s5, s0, s5
	s_mul_hi_u32 s0, s0, s21
	s_add_u32 s5, s5, s24
	s_addc_u32 s0, 0, s0
	s_mul_hi_u32 s22, s1, s21
	s_add_u32 s5, s5, s23
	s_addc_u32 s0, s0, s15
	s_mul_i32 s5, s1, s21
	s_addc_u32 s15, s22, 0
	s_add_u32 s0, s0, s5
	s_addc_u32 s5, 0, s15
	v_add_co_u32 v9, s0, v9, s0
	s_delay_alu instid0(VALU_DEP_1) | instskip(SKIP_2) | instid1(SALU_CYCLE_1)
	s_cmp_lg_u32 s0, 0
	s_addc_u32 s5, s1, s5
	s_ashr_i32 s0, s13, 31
	s_add_u32 s22, s4, s0
	s_addc_u32 s23, s13, s0
	v_readfirstlane_b32 s13, v9
	s_mov_b32 s1, s0
	s_delay_alu instid0(SALU_CYCLE_1) | instskip(NEXT) | instid1(SALU_CYCLE_1)
	s_xor_b64 s[22:23], s[22:23], s[0:1]
	s_mul_i32 s15, s22, s5
	s_delay_alu instid0(VALU_DEP_1)
	s_mul_hi_u32 s21, s22, s13
	s_mul_hi_u32 s24, s22, s5
	s_add_u32 s15, s21, s15
	s_mul_i32 s25, s23, s13
	s_addc_u32 s21, 0, s24
	s_mul_hi_u32 s13, s23, s13
	s_mul_hi_u32 s24, s23, s5
	s_add_u32 s15, s15, s25
	s_addc_u32 s13, s21, s13
	s_mul_i32 s5, s23, s5
	s_addc_u32 s15, s24, 0
	s_add_u32 s5, s13, s5
	s_addc_u32 s13, 0, s15
	s_mul_i32 s21, s20, s5
	s_add_u32 s15, s5, 1
	v_sub_co_u32 v9, s21, s22, s21
	s_addc_u32 s22, s13, 0
	s_mul_i32 s25, s20, s13
	s_mul_hi_u32 s27, s20, s5
	s_delay_alu instid0(VALU_DEP_1)
	v_sub_co_u32 v10, s26, v9, s20
	s_add_u32 s24, s5, 2
	s_addc_u32 s28, s13, 0
	s_add_i32 s27, s27, s25
	s_cmp_lg_u32 s21, 0
	v_readfirstlane_b32 s21, v10
	s_subb_u32 s23, s23, s27
	s_cmp_lg_u32 s26, 0
	s_subb_u32 s25, s23, 0
	s_delay_alu instid0(VALU_DEP_1) | instskip(SKIP_4) | instid1(SALU_CYCLE_1)
	s_cmp_ge_u32 s21, s20
	s_cselect_b32 s21, -1, 0
	s_cmp_eq_u32 s25, 0
	v_readfirstlane_b32 s25, v9
	s_cselect_b32 s21, s21, -1
	s_cmp_lg_u32 s21, 0
	s_cselect_b32 s15, s24, s15
	s_cselect_b32 s21, s28, s22
	s_cmp_ge_u32 s25, s20
	s_cselect_b32 s22, -1, 0
	s_cmp_eq_u32 s23, 0
	s_cselect_b32 s22, s22, -1
	s_delay_alu instid0(SALU_CYCLE_1) | instskip(SKIP_4) | instid1(SALU_CYCLE_1)
	s_cmp_lg_u32 s22, 0
	s_cselect_b32 s23, s21, s13
	s_cselect_b32 s22, s15, s5
	s_mov_b32 s5, 0
	s_xor_b64 s[22:23], s[22:23], s[0:1]
	s_sub_u32 s0, s22, s0
.LBB7_11:                               ;   in Loop: Header=BB7_9 Depth=1
	s_and_not1_b32 vcc_lo, exec_lo, s5
	s_cbranch_vccnz .LBB7_13
; %bb.12:                               ;   in Loop: Header=BB7_9 Depth=1
	v_readfirstlane_b32 s0, v6
	s_delay_alu instid0(VALU_DEP_1) | instskip(NEXT) | instid1(SALU_CYCLE_1)
	s_mul_i32 s1, s6, s0
	s_mul_hi_u32 s1, s0, s1
	s_delay_alu instid0(SALU_CYCLE_1) | instskip(NEXT) | instid1(SALU_CYCLE_1)
	s_add_i32 s0, s0, s1
	s_mul_hi_u32 s0, s4, s0
	s_delay_alu instid0(SALU_CYCLE_1) | instskip(NEXT) | instid1(SALU_CYCLE_1)
	s_mul_i32 s1, s0, s20
	s_sub_i32 s1, s4, s1
	s_add_i32 s4, s0, 1
	s_sub_i32 s5, s1, s20
	s_cmp_ge_u32 s1, s20
	s_cselect_b32 s0, s4, s0
	s_cselect_b32 s1, s5, s1
	s_add_i32 s4, s0, 1
	s_cmp_ge_u32 s1, s20
	s_cselect_b32 s0, s4, s0
.LBB7_13:                               ;   in Loop: Header=BB7_9 Depth=1
	s_delay_alu instid0(SALU_CYCLE_1)
	s_cmp_lg_u32 s16, s0
	s_cbranch_scc0 .LBB7_17
; %bb.14:                               ;   in Loop: Header=BB7_9 Depth=1
	s_add_i32 s1, s14, s20
	s_mov_b32 s5, s12
	s_lshl_b32 s1, s1, 6
	s_mov_b32 s15, s16
	s_add_i32 s4, s1, s17
	s_mul_hi_u32 s1, s0, s8
	s_lshl_b64 s[4:5], s[4:5], 3
	s_delay_alu instid0(SALU_CYCLE_1) | instskip(SKIP_2) | instid1(SALU_CYCLE_1)
	s_add_u32 s4, s2, s4
	s_addc_u32 s5, s3, s5
	s_add_i32 s1, s1, s0
	s_lshr_b32 s1, s1, s9
	s_delay_alu instid0(SALU_CYCLE_1) | instskip(NEXT) | instid1(SALU_CYCLE_1)
	s_mul_i32 s13, s1, s10
	s_cmp_eq_u32 s13, s0
	s_cselect_b32 s13, -1, 0
	s_cmp_lt_u32 s1, s11
	s_cselect_b32 s1, -1, 0
	s_delay_alu instid0(SALU_CYCLE_1)
	s_or_b32 s1, s1, s13
	s_mov_b32 s13, -1
	s_and_b32 vcc_lo, exec_lo, s1
	s_mov_b32 s1, s14
	s_cbranch_vccnz .LBB7_16
; %bb.15:                               ;   in Loop: Header=BB7_9 Depth=1
	s_add_i32 s1, s14, -1
	s_mov_b32 s13, 0
	s_mov_b32 s15, s0
.LBB7_16:                               ;   in Loop: Header=BB7_9 Depth=1
	v_lshl_add_u32 v9, s14, 12, v0
	s_load_b64 s[4:5], s[4:5], 0x0
	s_delay_alu instid0(VALU_DEP_1) | instskip(NEXT) | instid1(VALU_DEP_1)
	v_ashrrev_i32_e32 v10, 31, v9
	v_lshlrev_b64 v[9:10], 2, v[9:10]
	s_delay_alu instid0(VALU_DEP_1) | instskip(NEXT) | instid1(VALU_DEP_2)
	v_add_co_u32 v9, vcc_lo, s18, v9
	v_add_co_ci_u32_e32 v10, vcc_lo, s19, v10, vcc_lo
	s_waitcnt lgkmcnt(0)
	v_max_f32_e64 v11, s4, s4
	global_load_b32 v10, v[9:10], off
	v_max_f32_e32 v9, v8, v8
	s_delay_alu instid0(VALU_DEP_1) | instskip(NEXT) | instid1(VALU_DEP_1)
	v_max_f32_e32 v9, v9, v11
	v_sub_f32_e32 v12, v8, v9
	s_delay_alu instid0(VALU_DEP_1) | instskip(NEXT) | instid1(VALU_DEP_1)
	v_dual_mul_f32 v14, 0x3fb8aa3b, v12 :: v_dual_sub_f32 v11, s4, v9
	v_rndne_f32_e32 v18, v14
	s_delay_alu instid0(VALU_DEP_2) | instskip(SKIP_2) | instid1(VALU_DEP_4)
	v_mul_f32_e32 v13, 0x3fb8aa3b, v11
	v_fma_f32 v17, 0x3fb8aa3b, v12, -v14
	v_cmp_ngt_f32_e32 vcc_lo, 0xc2ce8ed0, v11
	v_sub_f32_e32 v14, v14, v18
	s_delay_alu instid0(VALU_DEP_4) | instskip(SKIP_2) | instid1(VALU_DEP_3)
	v_fma_f32 v15, 0x3fb8aa3b, v11, -v13
	v_rndne_f32_e32 v16, v13
	v_fmac_f32_e32 v17, 0x32a5705f, v12
	v_fmac_f32_e32 v15, 0x32a5705f, v11
	s_delay_alu instid0(VALU_DEP_2) | instskip(NEXT) | instid1(VALU_DEP_1)
	v_dual_sub_f32 v13, v13, v16 :: v_dual_add_f32 v14, v14, v17
	v_add_f32_e32 v13, v13, v15
	s_delay_alu instid0(VALU_DEP_2) | instskip(SKIP_2) | instid1(VALU_DEP_3)
	v_exp_f32_e32 v14, v14
	v_cvt_i32_f32_e32 v15, v16
	v_cvt_i32_f32_e32 v16, v18
	v_exp_f32_e32 v13, v13
	s_waitcnt_depctr 0xfff
	v_ldexp_f32 v14, v14, v16
	v_ldexp_f32 v13, v13, v15
	s_delay_alu instid0(VALU_DEP_1) | instskip(SKIP_1) | instid1(VALU_DEP_4)
	v_cndmask_b32_e32 v13, 0, v13, vcc_lo
	v_cmp_ngt_f32_e32 vcc_lo, 0xc2ce8ed0, v12
	v_cndmask_b32_e32 v14, 0, v14, vcc_lo
	v_cmp_nlt_f32_e32 vcc_lo, 0x42b17218, v11
	s_delay_alu instid0(VALU_DEP_4) | instskip(SKIP_1) | instid1(VALU_DEP_4)
	v_cndmask_b32_e32 v13, 0x7f800000, v13, vcc_lo
	v_cmp_nlt_f32_e32 vcc_lo, 0x42b17218, v12
	v_cndmask_b32_e32 v14, 0x7f800000, v14, vcc_lo
	v_cmp_le_f32_e32 vcc_lo, 0xc1a00000, v11
	s_delay_alu instid0(VALU_DEP_4) | instskip(SKIP_1) | instid1(VALU_DEP_4)
	v_cndmask_b32_e32 v11, 0, v13, vcc_lo
	v_cmp_le_f32_e32 vcc_lo, 0xc1a00000, v12
	v_cndmask_b32_e32 v12, 0, v14, vcc_lo
	s_waitcnt vmcnt(0)
	s_delay_alu instid0(VALU_DEP_3) | instskip(NEXT) | instid1(VALU_DEP_1)
	v_mul_f32_e32 v10, v10, v11
	v_dual_mul_f32 v11, s5, v11 :: v_dual_fmac_f32 v10, v3, v12
	s_delay_alu instid0(VALU_DEP_1)
	v_fmac_f32_e32 v11, v7, v12
	s_cbranch_execz .LBB7_18
	s_branch .LBB7_19
.LBB7_17:                               ;   in Loop: Header=BB7_9 Depth=1
                                        ; implicit-def: $sgpr13
                                        ; implicit-def: $vgpr10
                                        ; implicit-def: $vgpr9
                                        ; implicit-def: $vgpr11
                                        ; implicit-def: $sgpr1
                                        ; implicit-def: $sgpr15
.LBB7_18:                               ;   in Loop: Header=BB7_9 Depth=1
	v_mov_b32_e32 v11, v7
	s_waitcnt vmcnt(0)
	v_dual_mov_b32 v9, v8 :: v_dual_mov_b32 v10, v3
	s_add_i32 s1, s14, -1
	s_mov_b32 s13, 0
	s_mov_b32 s15, s16
.LBB7_19:                               ;   in Loop: Header=BB7_9 Depth=1
	s_and_not1_b32 vcc_lo, exec_lo, s13
	s_cbranch_vccz .LBB7_23
; %bb.20:                               ;   in Loop: Header=BB7_9 Depth=1
	v_dual_mov_b32 v7, v11 :: v_dual_mov_b32 v8, v9
	s_waitcnt vmcnt(0)
	v_mov_b32_e32 v3, v10
	s_mov_b32 s16, s15
	s_mov_b32 s14, s1
	s_branch .LBB7_9
.LBB7_21:
                                        ; implicit-def: $sgpr16_sgpr17
	s_load_b128 s[8:11], s[0:1], 0x44
	s_branch .LBB7_2
.LBB7_22:
                                        ; implicit-def: $sgpr18_sgpr19
	s_branch .LBB7_5
.LBB7_23:
	v_div_scale_f32 v0, null, v11, v11, v10
	s_waitcnt vmcnt(0)
	s_delay_alu instid0(VALU_DEP_1) | instskip(SKIP_2) | instid1(VALU_DEP_1)
	v_rcp_f32_e32 v3, v0
	s_waitcnt_depctr 0xfff
	v_fma_f32 v4, -v0, v3, 1.0
	v_fmac_f32_e32 v3, v4, v3
	v_div_scale_f32 v4, vcc_lo, v10, v11, v10
	s_delay_alu instid0(VALU_DEP_1) | instskip(NEXT) | instid1(VALU_DEP_1)
	v_mul_f32_e32 v5, v4, v3
	v_fma_f32 v6, -v0, v5, v4
	s_delay_alu instid0(VALU_DEP_1) | instskip(NEXT) | instid1(VALU_DEP_1)
	v_fmac_f32_e32 v5, v6, v3
	v_fma_f32 v0, -v0, v5, v4
	s_delay_alu instid0(VALU_DEP_1) | instskip(NEXT) | instid1(VALU_DEP_1)
	v_div_fmas_f32 v0, v0, v3, v5
	v_div_fixup_f32 v0, v0, v11, v10
	global_store_b32 v[1:2], v0, off
.LBB7_24:
	s_nop 0
	s_sendmsg sendmsg(MSG_DEALLOC_VGPRS)
	s_endpgm
	.section	.rodata,"a",@progbits
	.p2align	6, 0x0
	.amdhsa_kernel _ZL33flash_attn_stream_k_fixup_generalILi64ELi64ELi1EEvPfPK15HIP_vector_typeIfLj2EEiiiiS1_IjLj3EES5_S5_S5_
		.amdhsa_group_segment_fixed_size 0
		.amdhsa_private_segment_fixed_size 0
		.amdhsa_kernarg_size 336
		.amdhsa_user_sgpr_count 13
		.amdhsa_user_sgpr_dispatch_ptr 0
		.amdhsa_user_sgpr_queue_ptr 0
		.amdhsa_user_sgpr_kernarg_segment_ptr 1
		.amdhsa_user_sgpr_dispatch_id 0
		.amdhsa_user_sgpr_private_segment_size 0
		.amdhsa_wavefront_size32 1
		.amdhsa_uses_dynamic_stack 0
		.amdhsa_enable_private_segment 0
		.amdhsa_system_sgpr_workgroup_id_x 1
		.amdhsa_system_sgpr_workgroup_id_y 1
		.amdhsa_system_sgpr_workgroup_id_z 1
		.amdhsa_system_sgpr_workgroup_info 0
		.amdhsa_system_vgpr_workitem_id 0
		.amdhsa_next_free_vgpr 19
		.amdhsa_next_free_sgpr 32
		.amdhsa_reserve_vcc 1
		.amdhsa_float_round_mode_32 0
		.amdhsa_float_round_mode_16_64 0
		.amdhsa_float_denorm_mode_32 3
		.amdhsa_float_denorm_mode_16_64 3
		.amdhsa_dx10_clamp 1
		.amdhsa_ieee_mode 1
		.amdhsa_fp16_overflow 0
		.amdhsa_workgroup_processor_mode 1
		.amdhsa_memory_ordered 1
		.amdhsa_forward_progress 0
		.amdhsa_shared_vgpr_count 0
		.amdhsa_exception_fp_ieee_invalid_op 0
		.amdhsa_exception_fp_denorm_src 0
		.amdhsa_exception_fp_ieee_div_zero 0
		.amdhsa_exception_fp_ieee_overflow 0
		.amdhsa_exception_fp_ieee_underflow 0
		.amdhsa_exception_fp_ieee_inexact 0
		.amdhsa_exception_int_div_zero 0
	.end_amdhsa_kernel
	.section	.text._ZL33flash_attn_stream_k_fixup_generalILi64ELi64ELi1EEvPfPK15HIP_vector_typeIfLj2EEiiiiS1_IjLj3EES5_S5_S5_,"axG",@progbits,_ZL33flash_attn_stream_k_fixup_generalILi64ELi64ELi1EEvPfPK15HIP_vector_typeIfLj2EEiiiiS1_IjLj3EES5_S5_S5_,comdat
.Lfunc_end7:
	.size	_ZL33flash_attn_stream_k_fixup_generalILi64ELi64ELi1EEvPfPK15HIP_vector_typeIfLj2EEiiiiS1_IjLj3EES5_S5_S5_, .Lfunc_end7-_ZL33flash_attn_stream_k_fixup_generalILi64ELi64ELi1EEvPfPK15HIP_vector_typeIfLj2EEiiiiS1_IjLj3EES5_S5_S5_
                                        ; -- End function
	.section	.AMDGPU.csdata,"",@progbits
; Kernel info:
; codeLenInByte = 3220
; NumSgprs: 34
; NumVgprs: 19
; ScratchSize: 0
; MemoryBound: 0
; FloatMode: 240
; IeeeMode: 1
; LDSByteSize: 0 bytes/workgroup (compile time only)
; SGPRBlocks: 4
; VGPRBlocks: 2
; NumSGPRsForWavesPerEU: 34
; NumVGPRsForWavesPerEU: 19
; Occupancy: 16
; WaveLimiterHint : 0
; COMPUTE_PGM_RSRC2:SCRATCH_EN: 0
; COMPUTE_PGM_RSRC2:USER_SGPR: 13
; COMPUTE_PGM_RSRC2:TRAP_HANDLER: 0
; COMPUTE_PGM_RSRC2:TGID_X_EN: 1
; COMPUTE_PGM_RSRC2:TGID_Y_EN: 1
; COMPUTE_PGM_RSRC2:TGID_Z_EN: 1
; COMPUTE_PGM_RSRC2:TIDIG_COMP_CNT: 0
	.section	.text._ZL26flash_attn_combine_resultsILi64EEvPKfPK15HIP_vector_typeIfLj2EEPfi,"axG",@progbits,_ZL26flash_attn_combine_resultsILi64EEvPKfPK15HIP_vector_typeIfLj2EEPfi,comdat
	.globl	_ZL26flash_attn_combine_resultsILi64EEvPKfPK15HIP_vector_typeIfLj2EEPfi ; -- Begin function _ZL26flash_attn_combine_resultsILi64EEvPKfPK15HIP_vector_typeIfLj2EEPfi
	.p2align	8
	.type	_ZL26flash_attn_combine_resultsILi64EEvPKfPK15HIP_vector_typeIfLj2EEPfi,@function
_ZL26flash_attn_combine_resultsILi64EEvPKfPK15HIP_vector_typeIfLj2EEPfi: ; @_ZL26flash_attn_combine_resultsILi64EEvPKfPK15HIP_vector_typeIfLj2EEPfi
; %bb.0:
	s_clause 0x3
	s_load_b64 s[2:3], s[0:1], 0x20
	s_load_b32 s11, s[0:1], 0x18
	s_load_b128 s[4:7], s[0:1], 0x0
	s_load_b64 s[8:9], s[0:1], 0x10
	v_lshlrev_b32_e32 v5, 2, v0
	s_mov_b32 s12, exec_lo
	s_waitcnt lgkmcnt(0)
	s_mul_i32 s0, s2, s15
	s_lshl_b32 s1, s11, 1
	s_add_i32 s0, s0, s13
	s_delay_alu instid0(SALU_CYCLE_1) | instskip(NEXT) | instid1(SALU_CYCLE_1)
	s_mul_i32 s10, s0, s3
	s_add_i32 s10, s10, s14
	s_delay_alu instid0(SALU_CYCLE_1)
	s_mul_i32 s2, s10, s11
	v_cmpx_gt_i32_e64 s1, v0
	s_cbranch_execz .LBB8_3
; %bb.1:
	s_ashr_i32 s3, s2, 31
	v_dual_mov_b32 v4, v0 :: v_dual_add_nc_u32 v3, 0, v5
	s_lshl_b64 s[14:15], s[2:3], 3
	s_delay_alu instid0(SALU_CYCLE_1) | instskip(SKIP_2) | instid1(VALU_DEP_1)
	s_add_u32 s0, s6, s14
	s_addc_u32 s3, s7, s15
	v_add_co_u32 v1, s0, s0, v5
	v_add_co_ci_u32_e64 v2, null, s3, 0, s0
	s_mov_b32 s3, 0
.LBB8_2:                                ; =>This Inner Loop Header: Depth=1
	global_load_b32 v6, v[1:2], off
	v_add_nc_u32_e32 v4, 64, v4
	v_add_co_u32 v1, vcc_lo, 0x100, v1
	v_add_co_ci_u32_e32 v2, vcc_lo, 0, v2, vcc_lo
	s_delay_alu instid0(VALU_DEP_3) | instskip(NEXT) | instid1(VALU_DEP_1)
	v_cmp_le_i32_e64 s0, s1, v4
	s_or_b32 s3, s0, s3
	s_waitcnt vmcnt(0)
	ds_store_b32 v3, v6
	v_add_nc_u32_e32 v3, 0x100, v3
	s_and_not1_b32 exec_lo, exec_lo, s3
	s_cbranch_execnz .LBB8_2
.LBB8_3:
	s_or_b32 exec_lo, exec_lo, s12
	v_mov_b32_e32 v1, 0
	s_waitcnt lgkmcnt(0)
	s_barrier
	buffer_gl0_inv
	s_cmp_lt_i32 s11, 2
	ds_load_b32 v6, v1
	s_cbranch_scc1 .LBB8_11
; %bb.4:
	s_add_i32 s1, s11, -2
	s_add_i32 s0, s11, -1
	s_cmp_lt_u32 s1, 7
	s_cbranch_scc1 .LBB8_8
; %bb.5:
	s_mov_b32 s3, 0
	s_add_i32 s1, 0, 8
	s_and_b32 s6, s0, -8
	.p2align	6
.LBB8_6:                                ; =>This Inner Loop Header: Depth=1
	v_mov_b32_e32 v9, s1
	s_mov_b32 s7, s3
	s_add_i32 s3, s3, 8
	s_add_i32 s1, s1, 64
	s_cmp_eq_u32 s6, s3
	ds_load_2addr_b32 v[1:2], v9 offset1:2
	ds_load_2addr_b32 v[3:4], v9 offset0:4 offset1:6
	ds_load_2addr_b32 v[7:8], v9 offset0:8 offset1:10
	;; [unrolled: 1-line block ×3, first 2 shown]
	s_waitcnt lgkmcnt(3)
	v_max3_f32 v1, v6, v1, v2
	s_waitcnt lgkmcnt(2)
	s_delay_alu instid0(VALU_DEP_1) | instskip(SKIP_1) | instid1(VALU_DEP_1)
	v_max3_f32 v1, v1, v3, v4
	s_waitcnt lgkmcnt(1)
	v_max3_f32 v1, v1, v7, v8
	s_waitcnt lgkmcnt(0)
	s_delay_alu instid0(VALU_DEP_1)
	v_max3_f32 v6, v1, v9, v10
	s_cbranch_scc0 .LBB8_6
; %bb.7:
	s_add_i32 s1, s7, 9
	s_and_b32 s0, s0, 7
	s_delay_alu instid0(SALU_CYCLE_1)
	s_cmp_eq_u32 s0, 0
	s_cbranch_scc0 .LBB8_9
	s_branch .LBB8_11
.LBB8_8:
	s_mov_b32 s1, 1
	s_and_b32 s0, s0, 7
	s_delay_alu instid0(SALU_CYCLE_1)
	s_cmp_eq_u32 s0, 0
	s_cbranch_scc1 .LBB8_11
.LBB8_9:
	s_lshl_b32 s1, s1, 3
	s_delay_alu instid0(SALU_CYCLE_1)
	s_add_i32 s1, s1, 0
.LBB8_10:                               ; =>This Inner Loop Header: Depth=1
	s_waitcnt lgkmcnt(0)
	s_delay_alu instid0(VALU_DEP_1)
	v_dual_mov_b32 v1, s1 :: v_dual_max_f32 v2, v6, v6
	s_add_i32 s0, s0, -1
	s_add_i32 s1, s1, 8
	s_cmp_lg_u32 s0, 0
	ds_load_b32 v1, v1
	s_waitcnt lgkmcnt(0)
	v_max_f32_e32 v1, v1, v1
	s_delay_alu instid0(VALU_DEP_1)
	v_max_f32_e32 v6, v2, v1
	s_cbranch_scc1 .LBB8_10
.LBB8_11:
	s_cmp_lt_i32 s11, 1
	s_cbranch_scc1 .LBB8_16
; %bb.12:
	s_lshl_b32 s0, s2, 6
	v_mov_b32_e32 v7, 0
	s_ashr_i32 s1, s0, 31
	s_mov_b32 s13, 0
	s_lshl_b64 s[0:1], s[0:1], 2
	s_delay_alu instid0(SALU_CYCLE_1)
	s_add_u32 s6, s4, s0
	s_addc_u32 s7, s5, s1
	s_cmp_lt_u32 s11, 8
	s_cbranch_scc1 .LBB8_17
; %bb.13:
	v_or_b32_e32 v1, 0x1c0, v0
	v_dual_mov_b32 v4, 0 :: v_dual_mov_b32 v7, 0
	v_mov_b32_e32 v8, 0
	s_and_b32 s12, s11, 0x7ffffff8
	s_mov_b32 s14, 0
.LBB8_14:                               ; =>This Inner Loop Header: Depth=1
	s_delay_alu instid0(VALU_DEP_2) | instskip(SKIP_3) | instid1(VALU_DEP_2)
	v_dual_mov_b32 v2, v4 :: v_dual_add_nc_u32 v3, 0xfffffe40, v1
	v_mov_b32_e32 v21, s13
	s_add_i32 s14, s14, 8
	s_add_i32 s13, s13, 64
	v_lshlrev_b64 v[9:10], 2, v[3:4]
	v_add_nc_u32_e32 v3, 0xfffffe80, v1
	v_lshlrev_b64 v[11:12], 2, v[1:2]
	s_cmp_eq_u32 s12, s14
	s_delay_alu instid0(VALU_DEP_2) | instskip(NEXT) | instid1(VALU_DEP_4)
	v_lshlrev_b64 v[13:14], 2, v[3:4]
	v_add_co_u32 v9, vcc_lo, s6, v9
	v_add_co_ci_u32_e32 v10, vcc_lo, s7, v10, vcc_lo
	v_add_nc_u32_e32 v3, 0xfffffec0, v1
	s_delay_alu instid0(VALU_DEP_4)
	v_add_co_u32 v13, vcc_lo, s6, v13
	global_load_b32 v25, v[9:10], off
	v_add_co_ci_u32_e32 v14, vcc_lo, s7, v14, vcc_lo
	v_lshlrev_b64 v[15:16], 2, v[3:4]
	v_add_nc_u32_e32 v3, 0xffffff00, v1
	global_load_b32 v26, v[13:14], off
	v_lshlrev_b64 v[9:10], 2, v[3:4]
	v_add_nc_u32_e32 v3, 0xffffff40, v1
	v_add_co_u32 v13, vcc_lo, s6, v15
	v_add_co_ci_u32_e32 v14, vcc_lo, s7, v16, vcc_lo
	s_delay_alu instid0(VALU_DEP_4) | instskip(NEXT) | instid1(VALU_DEP_4)
	v_add_co_u32 v9, vcc_lo, s6, v9
	v_lshlrev_b64 v[15:16], 2, v[3:4]
	v_add_nc_u32_e32 v3, 0xffffff80, v1
	v_add_co_ci_u32_e32 v10, vcc_lo, s7, v10, vcc_lo
	s_clause 0x1
	global_load_b32 v27, v[13:14], off
	global_load_b32 v28, v[9:10], off
	v_lshlrev_b64 v[13:14], 2, v[3:4]
	v_subrev_nc_u32_e32 v3, 64, v1
	v_add_co_u32 v9, vcc_lo, s6, v15
	v_add_co_ci_u32_e32 v10, vcc_lo, s7, v16, vcc_lo
	s_delay_alu instid0(VALU_DEP_4) | instskip(NEXT) | instid1(VALU_DEP_4)
	v_add_co_u32 v13, vcc_lo, s6, v13
	v_lshlrev_b64 v[2:3], 2, v[3:4]
	v_add_co_ci_u32_e32 v14, vcc_lo, s7, v14, vcc_lo
	s_clause 0x1
	global_load_b32 v29, v[9:10], off
	global_load_b32 v30, v[13:14], off
	v_add_co_u32 v2, vcc_lo, s6, v2
	v_add_co_ci_u32_e32 v3, vcc_lo, s7, v3, vcc_lo
	v_add_co_u32 v9, vcc_lo, s6, v11
	v_add_co_ci_u32_e32 v10, vcc_lo, s7, v12, vcc_lo
	s_clause 0x1
	global_load_b32 v2, v[2:3], off
	global_load_b32 v3, v[9:10], off
	ds_load_2addr_b64 v[9:12], v21 offset1:1
	ds_load_2addr_b64 v[13:16], v21 offset0:2 offset1:3
	ds_load_2addr_b64 v[17:20], v21 offset0:4 offset1:5
	;; [unrolled: 1-line block ×3, first 2 shown]
	v_add_nc_u32_e32 v1, 0x200, v1
	s_waitcnt lgkmcnt(1)
	v_sub_f32_e32 v19, v19, v6
	v_sub_f32_e32 v11, v11, v6
	s_waitcnt lgkmcnt(0)
	v_sub_f32_e32 v23, v23, v6
	s_delay_alu instid0(VALU_DEP_3) | instskip(NEXT) | instid1(VALU_DEP_3)
	v_dual_sub_f32 v13, v13, v6 :: v_dual_mul_f32 v36, 0x3fb8aa3b, v19
	v_mul_f32_e32 v32, 0x3fb8aa3b, v11
	s_delay_alu instid0(VALU_DEP_2) | instskip(SKIP_1) | instid1(VALU_DEP_4)
	v_dual_mul_f32 v38, 0x3fb8aa3b, v23 :: v_dual_mul_f32 v33, 0x3fb8aa3b, v13
	v_cmp_ngt_f32_e32 vcc_lo, 0xc2ce8ed0, v13
	v_fma_f32 v49, 0x3fb8aa3b, v19, -v36
	s_delay_alu instid0(VALU_DEP_4) | instskip(SKIP_4) | instid1(VALU_DEP_4)
	v_fma_f32 v41, 0x3fb8aa3b, v11, -v32
	v_rndne_f32_e32 v42, v32
	v_fma_f32 v43, 0x3fb8aa3b, v13, -v33
	v_rndne_f32_e32 v44, v33
	v_rndne_f32_e32 v54, v38
	v_dual_fmac_f32 v41, 0x32a5705f, v11 :: v_dual_sub_f32 v32, v32, v42
	v_sub_f32_e32 v15, v15, v6
	v_fmac_f32_e32 v43, 0x32a5705f, v13
	v_sub_f32_e32 v33, v33, v44
	v_cvt_i32_f32_e32 v42, v42
	v_dual_add_f32 v32, v32, v41 :: v_dual_sub_f32 v9, v9, v6
	v_mul_f32_e32 v34, 0x3fb8aa3b, v15
	s_delay_alu instid0(VALU_DEP_4) | instskip(SKIP_1) | instid1(VALU_DEP_4)
	v_add_f32_e32 v33, v33, v43
	v_cvt_i32_f32_e32 v44, v44
	v_exp_f32_e32 v32, v32
	v_mul_f32_e32 v31, 0x3fb8aa3b, v9
	v_fma_f32 v45, 0x3fb8aa3b, v15, -v34
	v_rndne_f32_e32 v46, v34
	v_exp_f32_e32 v33, v33
	v_cmp_ngt_f32_e64 s5, 0xc2ce8ed0, v9
	v_fma_f32 v39, 0x3fb8aa3b, v9, -v31
	v_rndne_f32_e32 v40, v31
	v_dual_fmac_f32 v45, 0x32a5705f, v15 :: v_dual_sub_f32 v34, v34, v46
	v_sub_f32_e32 v17, v17, v6
	s_delay_alu instid0(VALU_DEP_4) | instskip(NEXT) | instid1(VALU_DEP_4)
	v_fmac_f32_e32 v39, 0x32a5705f, v9
	v_sub_f32_e32 v31, v31, v40
	v_cvt_i32_f32_e32 v40, v40
	v_add_f32_e32 v34, v34, v45
	v_ldexp_f32 v32, v32, v42
	v_ldexp_f32 v33, v33, v44
	v_add_f32_e32 v31, v31, v39
	v_cvt_i32_f32_e32 v46, v46
	v_exp_f32_e32 v34, v34
	v_cmp_ngt_f32_e64 s0, 0xc2ce8ed0, v15
	v_cmp_ngt_f32_e64 s1, 0xc2ce8ed0, v17
	v_exp_f32_e32 v31, v31
	v_rndne_f32_e32 v50, v36
	s_delay_alu instid0(VALU_DEP_1)
	v_dual_fmac_f32 v49, 0x32a5705f, v19 :: v_dual_sub_f32 v36, v36, v50
	s_waitcnt_depctr 0xfff
	v_ldexp_f32 v34, v34, v46
	v_cvt_i32_f32_e32 v50, v50
	v_ldexp_f32 v31, v31, v40
	v_add_f32_e32 v36, v36, v49
	v_cmp_ngt_f32_e64 s2, 0xc2ce8ed0, v19
	s_delay_alu instid0(VALU_DEP_3) | instskip(SKIP_1) | instid1(VALU_DEP_4)
	v_cndmask_b32_e64 v31, 0, v31, s5
	v_cmp_ngt_f32_e64 s5, 0xc2ce8ed0, v11
	v_exp_f32_e32 v36, v36
	s_delay_alu instid0(VALU_DEP_1) | instskip(SKIP_1) | instid1(VALU_DEP_1)
	v_cndmask_b32_e64 v32, 0, v32, s5
	v_cmp_nlt_f32_e64 s5, 0x42b17218, v9
	v_cndmask_b32_e64 v9, 0x7f800000, v31, s5
	v_cndmask_b32_e32 v31, 0, v33, vcc_lo
	v_cmp_nlt_f32_e32 vcc_lo, 0x42b17218, v11
	s_waitcnt_depctr 0xfff
	v_ldexp_f32 v36, v36, v50
	v_dual_fmac_f32 v8, v9, v10 :: v_dual_cndmask_b32 v11, 0x7f800000, v32
	v_cmp_nlt_f32_e32 vcc_lo, 0x42b17218, v13
	s_delay_alu instid0(VALU_DEP_2)
	v_fmac_f32_e32 v8, v11, v12
	v_cndmask_b32_e32 v10, 0x7f800000, v31, vcc_lo
	v_cmp_nlt_f32_e32 vcc_lo, 0x42b17218, v15
	v_fma_f32 v53, 0x3fb8aa3b, v23, -v38
	v_sub_f32_e32 v38, v38, v54
	v_cvt_i32_f32_e32 v54, v54
	v_fmac_f32_e32 v8, v10, v14
	v_cmp_ngt_f32_e64 s4, 0xc2ce8ed0, v23
	v_fmac_f32_e32 v53, 0x32a5705f, v23
	s_delay_alu instid0(VALU_DEP_1) | instskip(NEXT) | instid1(VALU_DEP_1)
	v_dual_sub_f32 v21, v21, v6 :: v_dual_add_f32 v38, v38, v53
	v_cmp_ngt_f32_e64 s3, 0xc2ce8ed0, v21
	s_delay_alu instid0(VALU_DEP_2)
	v_exp_f32_e32 v38, v38
	s_waitcnt_depctr 0xfff
	v_ldexp_f32 v38, v38, v54
	s_waitcnt vmcnt(7)
	v_fmac_f32_e32 v7, v25, v9
	v_cndmask_b32_e64 v9, 0, v34, s0
	s_delay_alu instid0(VALU_DEP_1)
	v_cndmask_b32_e32 v9, 0x7f800000, v9, vcc_lo
	v_mul_f32_e32 v35, 0x3fb8aa3b, v17
	s_waitcnt vmcnt(6)
	v_fmac_f32_e32 v7, v26, v11
	v_cmp_nlt_f32_e32 vcc_lo, 0x42b17218, v17
	v_fmac_f32_e32 v8, v9, v16
	v_fma_f32 v47, 0x3fb8aa3b, v17, -v35
	v_rndne_f32_e32 v48, v35
	s_delay_alu instid0(VALU_DEP_2) | instskip(NEXT) | instid1(VALU_DEP_2)
	v_fmac_f32_e32 v47, 0x32a5705f, v17
	v_sub_f32_e32 v35, v35, v48
	v_cvt_i32_f32_e32 v48, v48
	s_waitcnt vmcnt(5)
	v_fmac_f32_e32 v7, v27, v10
	v_cndmask_b32_e64 v10, 0, v36, s2
	v_add_f32_e32 v35, v35, v47
	s_waitcnt vmcnt(4)
	s_delay_alu instid0(VALU_DEP_3) | instskip(NEXT) | instid1(VALU_DEP_2)
	v_fmac_f32_e32 v7, v28, v9
	v_exp_f32_e32 v35, v35
	s_waitcnt_depctr 0xfff
	v_ldexp_f32 v35, v35, v48
	s_delay_alu instid0(VALU_DEP_1) | instskip(NEXT) | instid1(VALU_DEP_1)
	v_cndmask_b32_e64 v11, 0, v35, s1
	v_cndmask_b32_e32 v11, 0x7f800000, v11, vcc_lo
	v_mul_f32_e32 v37, 0x3fb8aa3b, v21
	v_cmp_nlt_f32_e32 vcc_lo, 0x42b17218, v19
	s_delay_alu instid0(VALU_DEP_3) | instskip(NEXT) | instid1(VALU_DEP_3)
	v_fmac_f32_e32 v8, v11, v18
	v_fma_f32 v51, 0x3fb8aa3b, v21, -v37
	v_rndne_f32_e32 v52, v37
	s_waitcnt vmcnt(3)
	v_dual_cndmask_b32 v10, 0x7f800000, v10 :: v_dual_fmac_f32 v7, v29, v11
	v_cmp_nlt_f32_e32 vcc_lo, 0x42b17218, v21
	v_fmac_f32_e32 v51, 0x32a5705f, v21
	v_sub_f32_e32 v37, v37, v52
	v_cvt_i32_f32_e32 v52, v52
	v_cndmask_b32_e64 v11, 0, v38, s4
	v_fmac_f32_e32 v8, v10, v20
	s_waitcnt vmcnt(2)
	v_fmac_f32_e32 v7, v30, v10
	v_add_f32_e32 v37, v37, v51
	s_delay_alu instid0(VALU_DEP_1) | instskip(SKIP_2) | instid1(VALU_DEP_1)
	v_exp_f32_e32 v37, v37
	s_waitcnt_depctr 0xfff
	v_ldexp_f32 v37, v37, v52
	v_cndmask_b32_e64 v9, 0, v37, s3
	s_delay_alu instid0(VALU_DEP_1) | instskip(SKIP_1) | instid1(VALU_DEP_2)
	v_cndmask_b32_e32 v9, 0x7f800000, v9, vcc_lo
	v_cmp_nlt_f32_e32 vcc_lo, 0x42b17218, v23
	v_fmac_f32_e32 v8, v9, v22
	s_waitcnt vmcnt(1)
	v_dual_cndmask_b32 v10, 0x7f800000, v11 :: v_dual_fmac_f32 v7, v2, v9
	s_waitcnt vmcnt(0)
	s_delay_alu instid0(VALU_DEP_1)
	v_dual_fmac_f32 v8, v10, v24 :: v_dual_fmac_f32 v7, v3, v10
	s_cbranch_scc0 .LBB8_14
; %bb.15:
	s_and_b32 s0, s11, 7
	s_delay_alu instid0(SALU_CYCLE_1)
	s_cmp_eq_u32 s0, 0
	s_cbranch_scc0 .LBB8_18
	s_branch .LBB8_20
.LBB8_16:
	v_mov_b32_e32 v0, 0x7fc00000
	s_branch .LBB8_21
.LBB8_17:
	v_mov_b32_e32 v8, 0
	s_mov_b32 s12, 0
	s_and_b32 s0, s11, 7
	s_delay_alu instid0(SALU_CYCLE_1)
	s_cmp_eq_u32 s0, 0
	s_cbranch_scc1 .LBB8_20
.LBB8_18:
	v_lshl_or_b32 v0, s12, 6, v0
	v_mov_b32_e32 v1, 0
	s_lshl_b32 s1, s12, 3
	s_delay_alu instid0(SALU_CYCLE_1)
	s_add_i32 s1, s1, 0
	s_set_inst_prefetch_distance 0x1
	.p2align	6
.LBB8_19:                               ; =>This Inner Loop Header: Depth=1
	s_delay_alu instid0(VALU_DEP_1) | instskip(SKIP_2) | instid1(VALU_DEP_2)
	v_lshlrev_b64 v[2:3], 2, v[0:1]
	s_add_i32 s0, s0, -1
	v_add_nc_u32_e32 v0, 64, v0
	v_add_co_u32 v2, vcc_lo, s6, v2
	s_delay_alu instid0(VALU_DEP_3)
	v_add_co_ci_u32_e32 v3, vcc_lo, s7, v3, vcc_lo
	global_load_b32 v4, v[2:3], off
	v_mov_b32_e32 v2, s1
	s_add_i32 s1, s1, 8
	s_cmp_lg_u32 s0, 0
	ds_load_b64 v[2:3], v2
	s_waitcnt lgkmcnt(0)
	v_sub_f32_e32 v2, v2, v6
	s_delay_alu instid0(VALU_DEP_1) | instskip(SKIP_1) | instid1(VALU_DEP_2)
	v_mul_f32_e32 v9, 0x3fb8aa3b, v2
	v_cmp_ngt_f32_e32 vcc_lo, 0xc2ce8ed0, v2
	v_fma_f32 v10, 0x3fb8aa3b, v2, -v9
	v_rndne_f32_e32 v11, v9
	s_delay_alu instid0(VALU_DEP_1) | instskip(NEXT) | instid1(VALU_DEP_1)
	v_dual_fmac_f32 v10, 0x32a5705f, v2 :: v_dual_sub_f32 v9, v9, v11
	v_add_f32_e32 v9, v9, v10
	v_cvt_i32_f32_e32 v10, v11
	s_delay_alu instid0(VALU_DEP_2) | instskip(SKIP_2) | instid1(VALU_DEP_1)
	v_exp_f32_e32 v9, v9
	s_waitcnt_depctr 0xfff
	v_ldexp_f32 v9, v9, v10
	v_cndmask_b32_e32 v9, 0, v9, vcc_lo
	v_cmp_nlt_f32_e32 vcc_lo, 0x42b17218, v2
	s_delay_alu instid0(VALU_DEP_2) | instskip(SKIP_1) | instid1(VALU_DEP_1)
	v_cndmask_b32_e32 v2, 0x7f800000, v9, vcc_lo
	s_waitcnt vmcnt(0)
	v_dual_fmac_f32 v8, v2, v3 :: v_dual_fmac_f32 v7, v4, v2
	s_cbranch_scc1 .LBB8_19
.LBB8_20:
	s_set_inst_prefetch_distance 0x2
	s_delay_alu instid0(VALU_DEP_1) | instskip(NEXT) | instid1(VALU_DEP_1)
	v_div_scale_f32 v0, null, v8, v8, v7
	v_rcp_f32_e32 v1, v0
	s_waitcnt_depctr 0xfff
	v_fma_f32 v2, -v0, v1, 1.0
	s_delay_alu instid0(VALU_DEP_1) | instskip(SKIP_1) | instid1(VALU_DEP_1)
	v_fmac_f32_e32 v1, v2, v1
	v_div_scale_f32 v2, vcc_lo, v7, v8, v7
	v_mul_f32_e32 v3, v2, v1
	s_delay_alu instid0(VALU_DEP_1) | instskip(NEXT) | instid1(VALU_DEP_1)
	v_fma_f32 v4, -v0, v3, v2
	v_fmac_f32_e32 v3, v4, v1
	s_delay_alu instid0(VALU_DEP_1) | instskip(NEXT) | instid1(VALU_DEP_1)
	v_fma_f32 v0, -v0, v3, v2
	v_div_fmas_f32 v0, v0, v1, v3
	s_delay_alu instid0(VALU_DEP_1)
	v_div_fixup_f32 v0, v0, v8, v7
.LBB8_21:
	s_lshl_b32 s0, s10, 6
	s_delay_alu instid0(SALU_CYCLE_1) | instskip(NEXT) | instid1(SALU_CYCLE_1)
	s_ashr_i32 s1, s0, 31
	s_lshl_b64 s[0:1], s[0:1], 2
	s_delay_alu instid0(SALU_CYCLE_1)
	s_add_u32 s0, s8, s0
	s_addc_u32 s1, s9, s1
	global_store_b32 v5, v0, s[0:1]
	s_nop 0
	s_sendmsg sendmsg(MSG_DEALLOC_VGPRS)
	s_endpgm
	.section	.rodata,"a",@progbits
	.p2align	6, 0x0
	.amdhsa_kernel _ZL26flash_attn_combine_resultsILi64EEvPKfPK15HIP_vector_typeIfLj2EEPfi
		.amdhsa_group_segment_fixed_size 0
		.amdhsa_private_segment_fixed_size 0
		.amdhsa_kernarg_size 288
		.amdhsa_user_sgpr_count 13
		.amdhsa_user_sgpr_dispatch_ptr 0
		.amdhsa_user_sgpr_queue_ptr 0
		.amdhsa_user_sgpr_kernarg_segment_ptr 1
		.amdhsa_user_sgpr_dispatch_id 0
		.amdhsa_user_sgpr_private_segment_size 0
		.amdhsa_wavefront_size32 1
		.amdhsa_uses_dynamic_stack 0
		.amdhsa_enable_private_segment 0
		.amdhsa_system_sgpr_workgroup_id_x 1
		.amdhsa_system_sgpr_workgroup_id_y 1
		.amdhsa_system_sgpr_workgroup_id_z 1
		.amdhsa_system_sgpr_workgroup_info 0
		.amdhsa_system_vgpr_workitem_id 0
		.amdhsa_next_free_vgpr 55
		.amdhsa_next_free_sgpr 16
		.amdhsa_reserve_vcc 1
		.amdhsa_float_round_mode_32 0
		.amdhsa_float_round_mode_16_64 0
		.amdhsa_float_denorm_mode_32 3
		.amdhsa_float_denorm_mode_16_64 3
		.amdhsa_dx10_clamp 1
		.amdhsa_ieee_mode 1
		.amdhsa_fp16_overflow 0
		.amdhsa_workgroup_processor_mode 1
		.amdhsa_memory_ordered 1
		.amdhsa_forward_progress 0
		.amdhsa_shared_vgpr_count 0
		.amdhsa_exception_fp_ieee_invalid_op 0
		.amdhsa_exception_fp_denorm_src 0
		.amdhsa_exception_fp_ieee_div_zero 0
		.amdhsa_exception_fp_ieee_overflow 0
		.amdhsa_exception_fp_ieee_underflow 0
		.amdhsa_exception_fp_ieee_inexact 0
		.amdhsa_exception_int_div_zero 0
	.end_amdhsa_kernel
	.section	.text._ZL26flash_attn_combine_resultsILi64EEvPKfPK15HIP_vector_typeIfLj2EEPfi,"axG",@progbits,_ZL26flash_attn_combine_resultsILi64EEvPKfPK15HIP_vector_typeIfLj2EEPfi,comdat
.Lfunc_end8:
	.size	_ZL26flash_attn_combine_resultsILi64EEvPKfPK15HIP_vector_typeIfLj2EEPfi, .Lfunc_end8-_ZL26flash_attn_combine_resultsILi64EEvPKfPK15HIP_vector_typeIfLj2EEPfi
                                        ; -- End function
	.section	.AMDGPU.csdata,"",@progbits
; Kernel info:
; codeLenInByte = 2344
; NumSgprs: 18
; NumVgprs: 55
; ScratchSize: 0
; MemoryBound: 0
; FloatMode: 240
; IeeeMode: 1
; LDSByteSize: 0 bytes/workgroup (compile time only)
; SGPRBlocks: 2
; VGPRBlocks: 6
; NumSGPRsForWavesPerEU: 18
; NumVGPRsForWavesPerEU: 55
; Occupancy: 16
; WaveLimiterHint : 0
; COMPUTE_PGM_RSRC2:SCRATCH_EN: 0
; COMPUTE_PGM_RSRC2:USER_SGPR: 13
; COMPUTE_PGM_RSRC2:TRAP_HANDLER: 0
; COMPUTE_PGM_RSRC2:TGID_X_EN: 1
; COMPUTE_PGM_RSRC2:TGID_Y_EN: 1
; COMPUTE_PGM_RSRC2:TGID_Z_EN: 1
; COMPUTE_PGM_RSRC2:TIDIG_COMP_CNT: 0
	.section	.text._ZL18flash_attn_ext_f16ILi80ELi80ELi64ELi1ELb0ELb0EEvPKcS1_S1_S1_S1_PKiPfP15HIP_vector_typeIfLj2EEffffjfiS5_IjLj3EEiiiiiiiiiiiliiliiiiil,"axG",@progbits,_ZL18flash_attn_ext_f16ILi80ELi80ELi64ELi1ELb0ELb0EEvPKcS1_S1_S1_S1_PKiPfP15HIP_vector_typeIfLj2EEffffjfiS5_IjLj3EEiiiiiiiiiiiliiliiiiil,comdat
	.globl	_ZL18flash_attn_ext_f16ILi80ELi80ELi64ELi1ELb0ELb0EEvPKcS1_S1_S1_S1_PKiPfP15HIP_vector_typeIfLj2EEffffjfiS5_IjLj3EEiiiiiiiiiiiliiliiiiil ; -- Begin function _ZL18flash_attn_ext_f16ILi80ELi80ELi64ELi1ELb0ELb0EEvPKcS1_S1_S1_S1_PKiPfP15HIP_vector_typeIfLj2EEffffjfiS5_IjLj3EEiiiiiiiiiiiliiliiiiil
	.p2align	8
	.type	_ZL18flash_attn_ext_f16ILi80ELi80ELi64ELi1ELb0ELb0EEvPKcS1_S1_S1_S1_PKiPfP15HIP_vector_typeIfLj2EEffffjfiS5_IjLj3EEiiiiiiiiiiiliiliiiiil,@function
_ZL18flash_attn_ext_f16ILi80ELi80ELi64ELi1ELb0ELb0EEvPKcS1_S1_S1_S1_PKiPfP15HIP_vector_typeIfLj2EEffffjfiS5_IjLj3EEiiiiiiiiiiiliiliiiiil: ; @_ZL18flash_attn_ext_f16ILi80ELi80ELi64ELi1ELb0ELb0EEvPKcS1_S1_S1_S1_PKiPfP15HIP_vector_typeIfLj2EEffffjfiS5_IjLj3EEiiiiiiiiiiiliiliiiiil
; %bb.0:
	v_mov_b32_e32 v0, 0x6e3
	s_add_u32 s8, s0, 0xd0
	s_addc_u32 s9, s1, 0
	s_mov_b32 s32, 0
	s_getpc_b64 s[0:1]
	s_add_u32 s0, s0, _ZL14no_device_codePKciS0_iS0_@rel32@lo+4
	s_addc_u32 s1, s1, _ZL14no_device_codePKciS0_iS0_@rel32@hi+12
	s_delay_alu instid0(SALU_CYCLE_1)
	s_swappc_b64 s[30:31], s[0:1]
	.section	.rodata,"a",@progbits
	.p2align	6, 0x0
	.amdhsa_kernel _ZL18flash_attn_ext_f16ILi80ELi80ELi64ELi1ELb0ELb0EEvPKcS1_S1_S1_S1_PKiPfP15HIP_vector_typeIfLj2EEffffjfiS5_IjLj3EEiiiiiiiiiiiliiliiiiil
		.amdhsa_group_segment_fixed_size 0
		.amdhsa_private_segment_fixed_size 16
		.amdhsa_kernarg_size 464
		.amdhsa_user_sgpr_count 15
		.amdhsa_user_sgpr_dispatch_ptr 0
		.amdhsa_user_sgpr_queue_ptr 0
		.amdhsa_user_sgpr_kernarg_segment_ptr 1
		.amdhsa_user_sgpr_dispatch_id 0
		.amdhsa_user_sgpr_private_segment_size 0
		.amdhsa_wavefront_size32 1
		.amdhsa_uses_dynamic_stack 0
		.amdhsa_enable_private_segment 1
		.amdhsa_system_sgpr_workgroup_id_x 1
		.amdhsa_system_sgpr_workgroup_id_y 0
		.amdhsa_system_sgpr_workgroup_id_z 0
		.amdhsa_system_sgpr_workgroup_info 0
		.amdhsa_system_vgpr_workitem_id 0
		.amdhsa_next_free_vgpr 37
		.amdhsa_next_free_sgpr 34
		.amdhsa_reserve_vcc 1
		.amdhsa_float_round_mode_32 0
		.amdhsa_float_round_mode_16_64 0
		.amdhsa_float_denorm_mode_32 3
		.amdhsa_float_denorm_mode_16_64 3
		.amdhsa_dx10_clamp 1
		.amdhsa_ieee_mode 1
		.amdhsa_fp16_overflow 0
		.amdhsa_workgroup_processor_mode 1
		.amdhsa_memory_ordered 1
		.amdhsa_forward_progress 0
		.amdhsa_shared_vgpr_count 0
		.amdhsa_exception_fp_ieee_invalid_op 0
		.amdhsa_exception_fp_denorm_src 0
		.amdhsa_exception_fp_ieee_div_zero 0
		.amdhsa_exception_fp_ieee_overflow 0
		.amdhsa_exception_fp_ieee_underflow 0
		.amdhsa_exception_fp_ieee_inexact 0
		.amdhsa_exception_int_div_zero 0
	.end_amdhsa_kernel
	.section	.text._ZL18flash_attn_ext_f16ILi80ELi80ELi64ELi1ELb0ELb0EEvPKcS1_S1_S1_S1_PKiPfP15HIP_vector_typeIfLj2EEffffjfiS5_IjLj3EEiiiiiiiiiiiliiliiiiil,"axG",@progbits,_ZL18flash_attn_ext_f16ILi80ELi80ELi64ELi1ELb0ELb0EEvPKcS1_S1_S1_S1_PKiPfP15HIP_vector_typeIfLj2EEffffjfiS5_IjLj3EEiiiiiiiiiiiliiliiiiil,comdat
.Lfunc_end9:
	.size	_ZL18flash_attn_ext_f16ILi80ELi80ELi64ELi1ELb0ELb0EEvPKcS1_S1_S1_S1_PKiPfP15HIP_vector_typeIfLj2EEffffjfiS5_IjLj3EEiiiiiiiiiiiliiliiiiil, .Lfunc_end9-_ZL18flash_attn_ext_f16ILi80ELi80ELi64ELi1ELb0ELb0EEvPKcS1_S1_S1_S1_PKiPfP15HIP_vector_typeIfLj2EEffffjfiS5_IjLj3EEiiiiiiiiiiiliiliiiiil
                                        ; -- End function
	.section	.AMDGPU.csdata,"",@progbits
; Kernel info:
; codeLenInByte = 52
; NumSgprs: 36
; NumVgprs: 37
; ScratchSize: 16
; MemoryBound: 0
; FloatMode: 240
; IeeeMode: 1
; LDSByteSize: 0 bytes/workgroup (compile time only)
; SGPRBlocks: 4
; VGPRBlocks: 4
; NumSGPRsForWavesPerEU: 36
; NumVGPRsForWavesPerEU: 37
; Occupancy: 16
; WaveLimiterHint : 1
; COMPUTE_PGM_RSRC2:SCRATCH_EN: 1
; COMPUTE_PGM_RSRC2:USER_SGPR: 15
; COMPUTE_PGM_RSRC2:TRAP_HANDLER: 0
; COMPUTE_PGM_RSRC2:TGID_X_EN: 1
; COMPUTE_PGM_RSRC2:TGID_Y_EN: 0
; COMPUTE_PGM_RSRC2:TGID_Z_EN: 0
; COMPUTE_PGM_RSRC2:TIDIG_COMP_CNT: 0
	.section	.text._ZL18flash_attn_ext_f16ILi80ELi80ELi64ELi1ELb1ELb0EEvPKcS1_S1_S1_S1_PKiPfP15HIP_vector_typeIfLj2EEffffjfiS5_IjLj3EEiiiiiiiiiiiliiliiiiil,"axG",@progbits,_ZL18flash_attn_ext_f16ILi80ELi80ELi64ELi1ELb1ELb0EEvPKcS1_S1_S1_S1_PKiPfP15HIP_vector_typeIfLj2EEffffjfiS5_IjLj3EEiiiiiiiiiiiliiliiiiil,comdat
	.globl	_ZL18flash_attn_ext_f16ILi80ELi80ELi64ELi1ELb1ELb0EEvPKcS1_S1_S1_S1_PKiPfP15HIP_vector_typeIfLj2EEffffjfiS5_IjLj3EEiiiiiiiiiiiliiliiiiil ; -- Begin function _ZL18flash_attn_ext_f16ILi80ELi80ELi64ELi1ELb1ELb0EEvPKcS1_S1_S1_S1_PKiPfP15HIP_vector_typeIfLj2EEffffjfiS5_IjLj3EEiiiiiiiiiiiliiliiiiil
	.p2align	8
	.type	_ZL18flash_attn_ext_f16ILi80ELi80ELi64ELi1ELb1ELb0EEvPKcS1_S1_S1_S1_PKiPfP15HIP_vector_typeIfLj2EEffffjfiS5_IjLj3EEiiiiiiiiiiiliiliiiiil,@function
_ZL18flash_attn_ext_f16ILi80ELi80ELi64ELi1ELb1ELb0EEvPKcS1_S1_S1_S1_PKiPfP15HIP_vector_typeIfLj2EEffffjfiS5_IjLj3EEiiiiiiiiiiiliiliiiiil: ; @_ZL18flash_attn_ext_f16ILi80ELi80ELi64ELi1ELb1ELb0EEvPKcS1_S1_S1_S1_PKiPfP15HIP_vector_typeIfLj2EEffffjfiS5_IjLj3EEiiiiiiiiiiiliiliiiiil
; %bb.0:
	v_mov_b32_e32 v0, 0x6cc
	s_add_u32 s8, s0, 0xd0
	s_addc_u32 s9, s1, 0
	s_mov_b32 s32, 0
	s_getpc_b64 s[0:1]
	s_add_u32 s0, s0, _ZL14no_device_codePKciS0_iS0_@rel32@lo+4
	s_addc_u32 s1, s1, _ZL14no_device_codePKciS0_iS0_@rel32@hi+12
	s_delay_alu instid0(SALU_CYCLE_1)
	s_swappc_b64 s[30:31], s[0:1]
	.section	.rodata,"a",@progbits
	.p2align	6, 0x0
	.amdhsa_kernel _ZL18flash_attn_ext_f16ILi80ELi80ELi64ELi1ELb1ELb0EEvPKcS1_S1_S1_S1_PKiPfP15HIP_vector_typeIfLj2EEffffjfiS5_IjLj3EEiiiiiiiiiiiliiliiiiil
		.amdhsa_group_segment_fixed_size 0
		.amdhsa_private_segment_fixed_size 16
		.amdhsa_kernarg_size 464
		.amdhsa_user_sgpr_count 15
		.amdhsa_user_sgpr_dispatch_ptr 0
		.amdhsa_user_sgpr_queue_ptr 0
		.amdhsa_user_sgpr_kernarg_segment_ptr 1
		.amdhsa_user_sgpr_dispatch_id 0
		.amdhsa_user_sgpr_private_segment_size 0
		.amdhsa_wavefront_size32 1
		.amdhsa_uses_dynamic_stack 0
		.amdhsa_enable_private_segment 1
		.amdhsa_system_sgpr_workgroup_id_x 1
		.amdhsa_system_sgpr_workgroup_id_y 0
		.amdhsa_system_sgpr_workgroup_id_z 0
		.amdhsa_system_sgpr_workgroup_info 0
		.amdhsa_system_vgpr_workitem_id 0
		.amdhsa_next_free_vgpr 37
		.amdhsa_next_free_sgpr 34
		.amdhsa_reserve_vcc 1
		.amdhsa_float_round_mode_32 0
		.amdhsa_float_round_mode_16_64 0
		.amdhsa_float_denorm_mode_32 3
		.amdhsa_float_denorm_mode_16_64 3
		.amdhsa_dx10_clamp 1
		.amdhsa_ieee_mode 1
		.amdhsa_fp16_overflow 0
		.amdhsa_workgroup_processor_mode 1
		.amdhsa_memory_ordered 1
		.amdhsa_forward_progress 0
		.amdhsa_shared_vgpr_count 0
		.amdhsa_exception_fp_ieee_invalid_op 0
		.amdhsa_exception_fp_denorm_src 0
		.amdhsa_exception_fp_ieee_div_zero 0
		.amdhsa_exception_fp_ieee_overflow 0
		.amdhsa_exception_fp_ieee_underflow 0
		.amdhsa_exception_fp_ieee_inexact 0
		.amdhsa_exception_int_div_zero 0
	.end_amdhsa_kernel
	.section	.text._ZL18flash_attn_ext_f16ILi80ELi80ELi64ELi1ELb1ELb0EEvPKcS1_S1_S1_S1_PKiPfP15HIP_vector_typeIfLj2EEffffjfiS5_IjLj3EEiiiiiiiiiiiliiliiiiil,"axG",@progbits,_ZL18flash_attn_ext_f16ILi80ELi80ELi64ELi1ELb1ELb0EEvPKcS1_S1_S1_S1_PKiPfP15HIP_vector_typeIfLj2EEffffjfiS5_IjLj3EEiiiiiiiiiiiliiliiiiil,comdat
.Lfunc_end10:
	.size	_ZL18flash_attn_ext_f16ILi80ELi80ELi64ELi1ELb1ELb0EEvPKcS1_S1_S1_S1_PKiPfP15HIP_vector_typeIfLj2EEffffjfiS5_IjLj3EEiiiiiiiiiiiliiliiiiil, .Lfunc_end10-_ZL18flash_attn_ext_f16ILi80ELi80ELi64ELi1ELb1ELb0EEvPKcS1_S1_S1_S1_PKiPfP15HIP_vector_typeIfLj2EEffffjfiS5_IjLj3EEiiiiiiiiiiiliiliiiiil
                                        ; -- End function
	.section	.AMDGPU.csdata,"",@progbits
; Kernel info:
; codeLenInByte = 52
; NumSgprs: 36
; NumVgprs: 37
; ScratchSize: 16
; MemoryBound: 0
; FloatMode: 240
; IeeeMode: 1
; LDSByteSize: 0 bytes/workgroup (compile time only)
; SGPRBlocks: 4
; VGPRBlocks: 4
; NumSGPRsForWavesPerEU: 36
; NumVGPRsForWavesPerEU: 37
; Occupancy: 16
; WaveLimiterHint : 1
; COMPUTE_PGM_RSRC2:SCRATCH_EN: 1
; COMPUTE_PGM_RSRC2:USER_SGPR: 15
; COMPUTE_PGM_RSRC2:TRAP_HANDLER: 0
; COMPUTE_PGM_RSRC2:TGID_X_EN: 1
; COMPUTE_PGM_RSRC2:TGID_Y_EN: 0
; COMPUTE_PGM_RSRC2:TGID_Z_EN: 0
; COMPUTE_PGM_RSRC2:TIDIG_COMP_CNT: 0
	.section	.text._ZL33flash_attn_stream_k_fixup_uniformILi80ELi64ELi1EEvPfPK15HIP_vector_typeIfLj2EEiiiiiiS1_IjLj3EES5_S5_,"axG",@progbits,_ZL33flash_attn_stream_k_fixup_uniformILi80ELi64ELi1EEvPfPK15HIP_vector_typeIfLj2EEiiiiiiS1_IjLj3EES5_S5_,comdat
	.globl	_ZL33flash_attn_stream_k_fixup_uniformILi80ELi64ELi1EEvPfPK15HIP_vector_typeIfLj2EEiiiiiiS1_IjLj3EES5_S5_ ; -- Begin function _ZL33flash_attn_stream_k_fixup_uniformILi80ELi64ELi1EEvPfPK15HIP_vector_typeIfLj2EEiiiiiiS1_IjLj3EES5_S5_
	.p2align	8
	.type	_ZL33flash_attn_stream_k_fixup_uniformILi80ELi64ELi1EEvPfPK15HIP_vector_typeIfLj2EEiiiiiiS1_IjLj3EES5_S5_,@function
_ZL33flash_attn_stream_k_fixup_uniformILi80ELi64ELi1EEvPfPK15HIP_vector_typeIfLj2EEiiiiiiS1_IjLj3EES5_S5_: ; @_ZL33flash_attn_stream_k_fixup_uniformILi80ELi64ELi1EEvPfPK15HIP_vector_typeIfLj2EEiiiiiiS1_IjLj3EES5_S5_
; %bb.0:
	s_clause 0x1
	s_load_b256 s[4:11], s[0:1], 0x1c
	s_load_b128 s[16:19], s[0:1], 0x3c
	s_waitcnt lgkmcnt(0)
	s_mul_hi_u32 s2, s7, s13
	s_delay_alu instid0(SALU_CYCLE_1) | instskip(NEXT) | instid1(SALU_CYCLE_1)
	s_add_i32 s2, s13, s2
	s_lshr_b32 s7, s2, s8
	s_delay_alu instid0(SALU_CYCLE_1) | instskip(NEXT) | instid1(SALU_CYCLE_1)
	s_mul_i32 s2, s7, s9
	s_sub_i32 s9, s13, s2
	s_delay_alu instid0(SALU_CYCLE_1) | instskip(NEXT) | instid1(SALU_CYCLE_1)
	s_mul_hi_u32 s2, s9, s10
	s_add_i32 s8, s9, s2
	s_load_b64 s[2:3], s[0:1], 0x10
	s_lshr_b32 s8, s8, s11
	s_delay_alu instid0(SALU_CYCLE_1) | instskip(NEXT) | instid1(SALU_CYCLE_1)
	s_mul_i32 s10, s8, s16
	s_sub_i32 s9, s9, s10
	s_delay_alu instid0(SALU_CYCLE_1) | instskip(NEXT) | instid1(SALU_CYCLE_1)
	s_mul_hi_u32 s10, s9, s17
	s_add_i32 s10, s9, s10
	s_delay_alu instid0(SALU_CYCLE_1) | instskip(NEXT) | instid1(SALU_CYCLE_1)
	s_lshr_b32 s11, s10, s18
	s_mul_i32 s10, s11, s19
	s_delay_alu instid0(SALU_CYCLE_1) | instskip(NEXT) | instid1(SALU_CYCLE_1)
	s_sub_i32 s10, s9, s10
	s_lshl_b32 s9, s10, 6
	s_delay_alu instid0(SALU_CYCLE_1) | instskip(SKIP_4) | instid1(SALU_CYCLE_1)
	s_add_i32 s9, s9, s14
	s_waitcnt lgkmcnt(0)
	s_cmp_lt_i32 s9, s2
	s_cselect_b32 s12, -1, 0
	s_add_i32 s9, s11, s15
	s_cmp_lt_i32 s9, s5
	s_cselect_b32 s11, -1, 0
	s_delay_alu instid0(SALU_CYCLE_1) | instskip(NEXT) | instid1(SALU_CYCLE_1)
	s_and_b32 s11, s12, s11
	s_and_not1_b32 vcc_lo, exec_lo, s11
	s_cbranch_vccnz .LBB11_6
; %bb.1:
	s_mul_i32 s8, s8, s5
	s_mul_i32 s5, s3, s10
	;; [unrolled: 1-line block ×3, first 2 shown]
	s_mulk_i32 s5, 0x1400
	s_add_i32 s2, s2, s14
	v_or_b32_e32 v1, s5, v0
	s_mul_i32 s7, s2, s3
	s_add_i32 s5, s9, s8
	s_load_b128 s[0:3], s[0:1], 0x0
	s_add_i32 s5, s5, s7
	s_add_i32 s10, s14, s15
	v_mad_u64_u32 v[2:3], null, 0x50, s5, v[1:2]
	s_mul_i32 s5, s13, s6
	s_delay_alu instid0(SALU_CYCLE_1) | instskip(NEXT) | instid1(VALU_DEP_1)
	s_add_i32 s9, s5, s6
	v_ashrrev_i32_e32 v3, 31, v2
	s_delay_alu instid0(VALU_DEP_1) | instskip(SKIP_1) | instid1(VALU_DEP_1)
	v_lshlrev_b64 v[1:2], 2, v[2:3]
	s_waitcnt lgkmcnt(0)
	v_add_co_u32 v1, vcc_lo, s0, v1
	s_delay_alu instid0(VALU_DEP_2) | instskip(SKIP_1) | instid1(SALU_CYCLE_1)
	v_add_co_ci_u32_e32 v2, vcc_lo, s1, v2, vcc_lo
	s_lshl_b32 s0, s9, 6
	s_add_i32 s0, s10, s0
	global_load_b32 v5, v[1:2], off
	s_sub_i32 s0, s0, 64
	s_delay_alu instid0(SALU_CYCLE_1) | instskip(NEXT) | instid1(SALU_CYCLE_1)
	s_ashr_i32 s1, s0, 31
	s_lshl_b64 s[0:1], s[0:1], 3
	s_delay_alu instid0(SALU_CYCLE_1)
	s_add_u32 s0, s2, s0
	s_addc_u32 s1, s3, s1
	s_add_i32 s7, s9, -2
	s_load_b32 s11, s[0:1], 0x4
	s_cmp_lt_i32 s7, s5
	s_cbranch_scc1 .LBB11_4
; %bb.2:
	s_load_b32 s12, s[0:1], 0x0
	s_lshl_b32 s0, s4, 8
	s_waitcnt lgkmcnt(0)
	v_mov_b32_e32 v6, s11
	s_ashr_i32 s1, s0, 31
	s_delay_alu instid0(SALU_CYCLE_1) | instskip(NEXT) | instid1(SALU_CYCLE_1)
	s_lshl_b64 s[0:1], s[0:1], 2
	s_add_u32 s7, s2, s0
	s_addc_u32 s8, s3, s1
	s_add_i32 s13, s13, 1
	s_mul_i32 s1, s10, 0x50
	s_mul_i32 s0, s6, s13
	s_delay_alu instid0(SALU_CYCLE_1)
	s_lshl_b32 s6, s0, 6
	s_mulk_i32 s0, 0x1400
	s_add_i32 s6, s10, s6
	s_add_i32 s1, s1, s0
	s_lshl_b32 s0, s4, 6
	v_add3_u32 v3, s1, v0, 0xffffd800
	s_add_i32 s0, s6, s0
	v_mov_b32_e32 v0, s12
	s_add_i32 s4, s9, -1
	s_addk_i32 s0, 0xff80
.LBB11_3:                               ; =>This Inner Loop Header: Depth=1
	s_delay_alu instid0(VALU_DEP_2) | instskip(SKIP_1) | instid1(SALU_CYCLE_1)
	v_ashrrev_i32_e32 v4, 31, v3
	s_ashr_i32 s1, s0, 31
	s_lshl_b64 s[10:11], s[0:1], 3
	s_delay_alu instid0(SALU_CYCLE_1) | instskip(NEXT) | instid1(VALU_DEP_1)
	s_add_u32 s10, s2, s10
	v_lshlrev_b64 v[7:8], 2, v[3:4]
	s_addc_u32 s11, s3, s11
	s_add_i32 s4, s4, -1
	s_sub_i32 s0, s0, 64
	s_cmp_le_i32 s4, s5
	s_load_b64 s[10:11], s[10:11], 0x0
	v_add_co_u32 v7, vcc_lo, s7, v7
	v_add_co_ci_u32_e32 v8, vcc_lo, s8, v8, vcc_lo
	global_load_b32 v4, v[7:8], off
	v_max_f32_e32 v7, v0, v0
	s_waitcnt lgkmcnt(0)
	v_max_f32_e64 v8, s10, s10
	s_delay_alu instid0(VALU_DEP_1) | instskip(NEXT) | instid1(VALU_DEP_1)
	v_max_f32_e32 v7, v7, v8
	v_sub_f32_e32 v8, s10, v7
	s_delay_alu instid0(VALU_DEP_1) | instskip(NEXT) | instid1(VALU_DEP_1)
	v_dual_sub_f32 v0, v0, v7 :: v_dual_mul_f32 v9, 0x3fb8aa3b, v8
	v_fma_f32 v10, 0x3fb8aa3b, v8, -v9
	v_rndne_f32_e32 v11, v9
	s_delay_alu instid0(VALU_DEP_3) | instskip(NEXT) | instid1(VALU_DEP_2)
	v_mul_f32_e32 v12, 0x3fb8aa3b, v0
	v_dual_fmac_f32 v10, 0x32a5705f, v8 :: v_dual_sub_f32 v9, v9, v11
	v_cvt_i32_f32_e32 v11, v11
	s_delay_alu instid0(VALU_DEP_3) | instskip(SKIP_1) | instid1(VALU_DEP_4)
	v_fma_f32 v13, 0x3fb8aa3b, v0, -v12
	v_rndne_f32_e32 v14, v12
	v_add_f32_e32 v9, v9, v10
	v_cmp_ngt_f32_e32 vcc_lo, 0xc2ce8ed0, v8
	s_delay_alu instid0(VALU_DEP_3) | instskip(NEXT) | instid1(VALU_DEP_3)
	v_sub_f32_e32 v10, v12, v14
	v_exp_f32_e32 v9, v9
	s_waitcnt_depctr 0xfff
	v_ldexp_f32 v9, v9, v11
	v_cvt_i32_f32_e32 v11, v14
	s_delay_alu instid0(VALU_DEP_2) | instskip(SKIP_1) | instid1(VALU_DEP_2)
	v_cndmask_b32_e32 v9, 0, v9, vcc_lo
	v_cmp_nlt_f32_e32 vcc_lo, 0x42b17218, v8
	v_cndmask_b32_e32 v9, 0x7f800000, v9, vcc_lo
	v_cmp_ngt_f32_e32 vcc_lo, 0xc2ce8ed0, v0
	v_fmac_f32_e32 v13, 0x32a5705f, v0
	s_delay_alu instid0(VALU_DEP_1) | instskip(NEXT) | instid1(VALU_DEP_1)
	v_add_f32_e32 v10, v10, v13
	v_exp_f32_e32 v10, v10
	s_waitcnt_depctr 0xfff
	v_ldexp_f32 v10, v10, v11
	s_delay_alu instid0(VALU_DEP_1)
	v_dual_mov_b32 v11, v6 :: v_dual_cndmask_b32 v10, 0, v10
	v_cmp_le_f32_e32 vcc_lo, 0xc1a00000, v8
	s_waitcnt vmcnt(1)
	v_dual_cndmask_b32 v8, 0, v9 :: v_dual_mov_b32 v9, v5
	v_cmp_nlt_f32_e32 vcc_lo, 0x42b17218, v0
	v_cndmask_b32_e32 v5, 0x7f800000, v10, vcc_lo
	s_delay_alu instid0(VALU_DEP_3) | instskip(SKIP_2) | instid1(VALU_DEP_3)
	v_mul_f32_e32 v10, s11, v8
	v_cmp_le_f32_e32 vcc_lo, 0xc1a00000, v0
	v_mov_b32_e32 v0, v7
	v_mov_b32_e32 v6, v10
	s_waitcnt vmcnt(0)
	v_dual_cndmask_b32 v12, 0, v5 :: v_dual_mul_f32 v5, v4, v8
	s_delay_alu instid0(VALU_DEP_1) | instskip(NEXT) | instid1(VALU_DEP_2)
	v_dual_fmac_f32 v6, v11, v12 :: v_dual_add_nc_u32 v3, 0xffffec00, v3
	v_fmac_f32_e32 v5, v9, v12
	s_cbranch_scc0 .LBB11_3
	s_branch .LBB11_5
.LBB11_4:
	s_waitcnt lgkmcnt(0)
	v_mov_b32_e32 v6, s11
.LBB11_5:
	s_waitcnt vmcnt(0)
	s_delay_alu instid0(VALU_DEP_1) | instskip(NEXT) | instid1(VALU_DEP_1)
	v_div_scale_f32 v0, null, v6, v6, v5
	v_rcp_f32_e32 v3, v0
	s_waitcnt_depctr 0xfff
	v_fma_f32 v4, -v0, v3, 1.0
	s_delay_alu instid0(VALU_DEP_1) | instskip(SKIP_1) | instid1(VALU_DEP_1)
	v_fmac_f32_e32 v3, v4, v3
	v_div_scale_f32 v4, vcc_lo, v5, v6, v5
	v_mul_f32_e32 v7, v4, v3
	s_delay_alu instid0(VALU_DEP_1) | instskip(NEXT) | instid1(VALU_DEP_1)
	v_fma_f32 v8, -v0, v7, v4
	v_fmac_f32_e32 v7, v8, v3
	s_delay_alu instid0(VALU_DEP_1) | instskip(NEXT) | instid1(VALU_DEP_1)
	v_fma_f32 v0, -v0, v7, v4
	v_div_fmas_f32 v0, v0, v3, v7
	s_delay_alu instid0(VALU_DEP_1)
	v_div_fixup_f32 v0, v0, v6, v5
	global_store_b32 v[1:2], v0, off
.LBB11_6:
	s_nop 0
	s_sendmsg sendmsg(MSG_DEALLOC_VGPRS)
	s_endpgm
	.section	.rodata,"a",@progbits
	.p2align	6, 0x0
	.amdhsa_kernel _ZL33flash_attn_stream_k_fixup_uniformILi80ELi64ELi1EEvPfPK15HIP_vector_typeIfLj2EEiiiiiiS1_IjLj3EES5_S5_
		.amdhsa_group_segment_fixed_size 0
		.amdhsa_private_segment_fixed_size 0
		.amdhsa_kernarg_size 76
		.amdhsa_user_sgpr_count 13
		.amdhsa_user_sgpr_dispatch_ptr 0
		.amdhsa_user_sgpr_queue_ptr 0
		.amdhsa_user_sgpr_kernarg_segment_ptr 1
		.amdhsa_user_sgpr_dispatch_id 0
		.amdhsa_user_sgpr_private_segment_size 0
		.amdhsa_wavefront_size32 1
		.amdhsa_uses_dynamic_stack 0
		.amdhsa_enable_private_segment 0
		.amdhsa_system_sgpr_workgroup_id_x 1
		.amdhsa_system_sgpr_workgroup_id_y 1
		.amdhsa_system_sgpr_workgroup_id_z 1
		.amdhsa_system_sgpr_workgroup_info 0
		.amdhsa_system_vgpr_workitem_id 0
		.amdhsa_next_free_vgpr 15
		.amdhsa_next_free_sgpr 20
		.amdhsa_reserve_vcc 1
		.amdhsa_float_round_mode_32 0
		.amdhsa_float_round_mode_16_64 0
		.amdhsa_float_denorm_mode_32 3
		.amdhsa_float_denorm_mode_16_64 3
		.amdhsa_dx10_clamp 1
		.amdhsa_ieee_mode 1
		.amdhsa_fp16_overflow 0
		.amdhsa_workgroup_processor_mode 1
		.amdhsa_memory_ordered 1
		.amdhsa_forward_progress 0
		.amdhsa_shared_vgpr_count 0
		.amdhsa_exception_fp_ieee_invalid_op 0
		.amdhsa_exception_fp_denorm_src 0
		.amdhsa_exception_fp_ieee_div_zero 0
		.amdhsa_exception_fp_ieee_overflow 0
		.amdhsa_exception_fp_ieee_underflow 0
		.amdhsa_exception_fp_ieee_inexact 0
		.amdhsa_exception_int_div_zero 0
	.end_amdhsa_kernel
	.section	.text._ZL33flash_attn_stream_k_fixup_uniformILi80ELi64ELi1EEvPfPK15HIP_vector_typeIfLj2EEiiiiiiS1_IjLj3EES5_S5_,"axG",@progbits,_ZL33flash_attn_stream_k_fixup_uniformILi80ELi64ELi1EEvPfPK15HIP_vector_typeIfLj2EEiiiiiiS1_IjLj3EES5_S5_,comdat
.Lfunc_end11:
	.size	_ZL33flash_attn_stream_k_fixup_uniformILi80ELi64ELi1EEvPfPK15HIP_vector_typeIfLj2EEiiiiiiS1_IjLj3EES5_S5_, .Lfunc_end11-_ZL33flash_attn_stream_k_fixup_uniformILi80ELi64ELi1EEvPfPK15HIP_vector_typeIfLj2EEiiiiiiS1_IjLj3EES5_S5_
                                        ; -- End function
	.section	.AMDGPU.csdata,"",@progbits
; Kernel info:
; codeLenInByte = 980
; NumSgprs: 22
; NumVgprs: 15
; ScratchSize: 0
; MemoryBound: 0
; FloatMode: 240
; IeeeMode: 1
; LDSByteSize: 0 bytes/workgroup (compile time only)
; SGPRBlocks: 2
; VGPRBlocks: 1
; NumSGPRsForWavesPerEU: 22
; NumVGPRsForWavesPerEU: 15
; Occupancy: 16
; WaveLimiterHint : 0
; COMPUTE_PGM_RSRC2:SCRATCH_EN: 0
; COMPUTE_PGM_RSRC2:USER_SGPR: 13
; COMPUTE_PGM_RSRC2:TRAP_HANDLER: 0
; COMPUTE_PGM_RSRC2:TGID_X_EN: 1
; COMPUTE_PGM_RSRC2:TGID_Y_EN: 1
; COMPUTE_PGM_RSRC2:TGID_Z_EN: 1
; COMPUTE_PGM_RSRC2:TIDIG_COMP_CNT: 0
	.section	.text._ZL33flash_attn_stream_k_fixup_generalILi80ELi64ELi1EEvPfPK15HIP_vector_typeIfLj2EEiiiiS1_IjLj3EES5_S5_S5_,"axG",@progbits,_ZL33flash_attn_stream_k_fixup_generalILi80ELi64ELi1EEvPfPK15HIP_vector_typeIfLj2EEiiiiS1_IjLj3EES5_S5_S5_,comdat
	.globl	_ZL33flash_attn_stream_k_fixup_generalILi80ELi64ELi1EEvPfPK15HIP_vector_typeIfLj2EEiiiiS1_IjLj3EES5_S5_S5_ ; -- Begin function _ZL33flash_attn_stream_k_fixup_generalILi80ELi64ELi1EEvPfPK15HIP_vector_typeIfLj2EEiiiiS1_IjLj3EES5_S5_S5_
	.p2align	8
	.type	_ZL33flash_attn_stream_k_fixup_generalILi80ELi64ELi1EEvPfPK15HIP_vector_typeIfLj2EEiiiiS1_IjLj3EES5_S5_S5_,@function
_ZL33flash_attn_stream_k_fixup_generalILi80ELi64ELi1EEvPfPK15HIP_vector_typeIfLj2EEiiiiS1_IjLj3EES5_S5_S5_: ; @_ZL33flash_attn_stream_k_fixup_generalILi80ELi64ELi1EEvPfPK15HIP_vector_typeIfLj2EEiiiiS1_IjLj3EES5_S5_S5_
; %bb.0:
	s_clause 0x1
	s_load_b128 s[4:7], s[0:1], 0x10
	s_load_b32 s20, s[0:1], 0x50
	s_mov_b32 s2, 0
	s_waitcnt lgkmcnt(0)
	s_mul_hi_i32 s3, s7, s13
	s_mul_i32 s12, s7, s13
	s_cmp_lg_u64 s[2:3], 0
	s_cbranch_scc0 .LBB12_21
; %bb.1:
	v_cvt_f32_ubyte0_e32 v1, 0
	v_cvt_f32_u32_e32 v2, s20
	s_sub_u32 s10, 0, s20
	s_subb_u32 s11, 0, 0
	s_delay_alu instid0(VALU_DEP_1) | instskip(NEXT) | instid1(VALU_DEP_1)
	v_fmamk_f32 v1, v1, 0x4f800000, v2
	v_rcp_f32_e32 v1, v1
	s_waitcnt_depctr 0xfff
	v_mul_f32_e32 v1, 0x5f7ffffc, v1
	s_delay_alu instid0(VALU_DEP_1) | instskip(NEXT) | instid1(VALU_DEP_1)
	v_mul_f32_e32 v2, 0x2f800000, v1
	v_trunc_f32_e32 v2, v2
	s_delay_alu instid0(VALU_DEP_1) | instskip(SKIP_1) | instid1(VALU_DEP_2)
	v_fmamk_f32 v1, v2, 0xcf800000, v1
	v_cvt_u32_f32_e32 v2, v2
	v_cvt_u32_f32_e32 v1, v1
	s_delay_alu instid0(VALU_DEP_2) | instskip(NEXT) | instid1(VALU_DEP_2)
	v_readfirstlane_b32 s8, v2
	v_readfirstlane_b32 s9, v1
	s_delay_alu instid0(VALU_DEP_2) | instskip(NEXT) | instid1(VALU_DEP_1)
	s_mul_i32 s16, s10, s8
	s_mul_hi_u32 s18, s10, s9
	s_mul_i32 s17, s11, s9
	s_add_i32 s16, s18, s16
	s_mul_i32 s19, s10, s9
	s_add_i32 s16, s16, s17
	s_mul_hi_u32 s18, s9, s19
	s_mul_hi_u32 s21, s8, s19
	s_mul_i32 s17, s8, s19
	s_mul_hi_u32 s19, s9, s16
	s_mul_i32 s9, s9, s16
	s_mul_hi_u32 s22, s8, s16
	s_add_u32 s9, s18, s9
	s_addc_u32 s18, 0, s19
	s_add_u32 s9, s9, s17
	s_mul_i32 s16, s8, s16
	s_addc_u32 s9, s18, s21
	s_addc_u32 s17, s22, 0
	s_add_u32 s9, s9, s16
	s_addc_u32 s16, 0, s17
	v_add_co_u32 v1, s9, v1, s9
	s_delay_alu instid0(VALU_DEP_1) | instskip(SKIP_1) | instid1(VALU_DEP_1)
	s_cmp_lg_u32 s9, 0
	s_addc_u32 s8, s8, s16
	v_readfirstlane_b32 s9, v1
	s_mul_i32 s16, s10, s8
	s_delay_alu instid0(VALU_DEP_1)
	s_mul_hi_u32 s17, s10, s9
	s_mul_i32 s11, s11, s9
	s_add_i32 s16, s17, s16
	s_mul_i32 s10, s10, s9
	s_add_i32 s16, s16, s11
	s_mul_hi_u32 s17, s8, s10
	s_mul_i32 s18, s8, s10
	s_mul_hi_u32 s10, s9, s10
	s_mul_hi_u32 s19, s9, s16
	s_mul_i32 s9, s9, s16
	s_mul_hi_u32 s11, s8, s16
	s_add_u32 s9, s10, s9
	s_addc_u32 s10, 0, s19
	s_add_u32 s9, s9, s18
	s_mul_i32 s16, s8, s16
	s_addc_u32 s9, s10, s17
	s_addc_u32 s10, s11, 0
	s_add_u32 s9, s9, s16
	s_addc_u32 s10, 0, s10
	v_add_co_u32 v1, s9, v1, s9
	s_delay_alu instid0(VALU_DEP_1) | instskip(SKIP_2) | instid1(SALU_CYCLE_1)
	s_cmp_lg_u32 s9, 0
	s_addc_u32 s16, s8, s10
	s_ashr_i32 s8, s3, 31
	s_add_u32 s10, s12, s8
	s_addc_u32 s11, s3, s8
	v_readfirstlane_b32 s3, v1
	s_mov_b32 s9, s8
	s_delay_alu instid0(SALU_CYCLE_1) | instskip(NEXT) | instid1(SALU_CYCLE_1)
	s_xor_b64 s[10:11], s[10:11], s[8:9]
	s_mul_i32 s18, s10, s16
	s_delay_alu instid0(VALU_DEP_1)
	s_mul_hi_u32 s19, s10, s3
	s_mul_hi_u32 s17, s10, s16
	;; [unrolled: 1-line block ×3, first 2 shown]
	s_mul_i32 s3, s11, s3
	s_add_u32 s18, s19, s18
	s_addc_u32 s17, 0, s17
	s_mul_hi_u32 s21, s11, s16
	s_add_u32 s3, s18, s3
	s_mul_i32 s16, s11, s16
	s_addc_u32 s3, s17, s22
	s_addc_u32 s17, s21, 0
	s_add_u32 s3, s3, s16
	s_addc_u32 s16, 0, s17
	s_mul_i32 s18, s20, s3
	s_add_u32 s17, s3, 1
	v_sub_co_u32 v1, s10, s10, s18
	s_mul_hi_u32 s18, s20, s3
	s_addc_u32 s19, s16, 0
	s_mul_i32 s21, s20, s16
	s_delay_alu instid0(VALU_DEP_1)
	v_sub_co_u32 v2, s22, v1, s20
	s_add_u32 s23, s3, 2
	s_addc_u32 s24, s16, 0
	s_add_i32 s18, s18, s21
	s_cmp_lg_u32 s10, 0
	v_readfirstlane_b32 s10, v2
	s_subb_u32 s11, s11, s18
	s_cmp_lg_u32 s22, 0
	s_subb_u32 s18, s11, 0
	s_delay_alu instid0(VALU_DEP_1) | instskip(SKIP_4) | instid1(SALU_CYCLE_1)
	s_cmp_ge_u32 s10, s20
	s_cselect_b32 s10, -1, 0
	s_cmp_eq_u32 s18, 0
	v_readfirstlane_b32 s18, v1
	s_cselect_b32 s10, s10, -1
	s_cmp_lg_u32 s10, 0
	s_cselect_b32 s10, s23, s17
	s_cselect_b32 s17, s24, s19
	s_cmp_ge_u32 s18, s20
	s_cselect_b32 s18, -1, 0
	s_cmp_eq_u32 s11, 0
	s_cselect_b32 s11, s18, -1
	s_delay_alu instid0(SALU_CYCLE_1) | instskip(SKIP_2) | instid1(SALU_CYCLE_1)
	s_cmp_lg_u32 s11, 0
	s_cselect_b32 s11, s17, s16
	s_cselect_b32 s10, s10, s3
	s_xor_b64 s[10:11], s[10:11], s[8:9]
	s_delay_alu instid0(SALU_CYCLE_1)
	s_sub_u32 s16, s10, s8
	s_load_b128 s[8:11], s[0:1], 0x44
	s_and_not1_b32 vcc_lo, exec_lo, s2
	s_cbranch_vccnz .LBB12_3
.LBB12_2:
	v_cvt_f32_u32_e32 v1, s20
	s_sub_i32 s3, 0, s20
	s_delay_alu instid0(VALU_DEP_1) | instskip(SKIP_2) | instid1(VALU_DEP_1)
	v_rcp_iflag_f32_e32 v1, v1
	s_waitcnt_depctr 0xfff
	v_mul_f32_e32 v1, 0x4f7ffffe, v1
	v_cvt_u32_f32_e32 v1, v1
	s_delay_alu instid0(VALU_DEP_1) | instskip(NEXT) | instid1(VALU_DEP_1)
	v_readfirstlane_b32 s2, v1
	s_mul_i32 s3, s3, s2
	s_delay_alu instid0(SALU_CYCLE_1) | instskip(NEXT) | instid1(SALU_CYCLE_1)
	s_mul_hi_u32 s3, s2, s3
	s_add_i32 s2, s2, s3
	s_delay_alu instid0(SALU_CYCLE_1) | instskip(NEXT) | instid1(SALU_CYCLE_1)
	s_mul_hi_u32 s2, s12, s2
	s_mul_i32 s3, s2, s20
	s_waitcnt lgkmcnt(0)
	s_add_i32 s11, s2, 1
	s_sub_i32 s3, s12, s3
	s_delay_alu instid0(SALU_CYCLE_1)
	s_sub_i32 s12, s3, s20
	s_cmp_ge_u32 s3, s20
	s_cselect_b32 s2, s11, s2
	s_cselect_b32 s3, s12, s3
	s_add_i32 s11, s2, 1
	s_cmp_ge_u32 s3, s20
	s_cselect_b32 s16, s11, s2
.LBB12_3:
	s_waitcnt lgkmcnt(0)
	s_add_i32 s11, s13, 1
	s_mov_b32 s2, 0
	s_mul_hi_i32 s3, s7, s11
	s_mul_i32 s11, s7, s11
	s_cmp_lg_u64 s[2:3], 0
	s_cbranch_scc0 .LBB12_22
; %bb.4:
	v_cvt_f32_ubyte0_e32 v1, 0
	v_cvt_f32_u32_e32 v2, s20
	s_sub_u32 s18, 0, s20
	s_subb_u32 s19, 0, 0
	s_delay_alu instid0(VALU_DEP_1) | instskip(NEXT) | instid1(VALU_DEP_1)
	v_fmamk_f32 v1, v1, 0x4f800000, v2
	v_rcp_f32_e32 v1, v1
	s_waitcnt_depctr 0xfff
	v_mul_f32_e32 v1, 0x5f7ffffc, v1
	s_delay_alu instid0(VALU_DEP_1) | instskip(NEXT) | instid1(VALU_DEP_1)
	v_mul_f32_e32 v2, 0x2f800000, v1
	v_trunc_f32_e32 v2, v2
	s_delay_alu instid0(VALU_DEP_1) | instskip(SKIP_1) | instid1(VALU_DEP_2)
	v_fmamk_f32 v1, v2, 0xcf800000, v1
	v_cvt_u32_f32_e32 v2, v2
	v_cvt_u32_f32_e32 v1, v1
	s_delay_alu instid0(VALU_DEP_2) | instskip(NEXT) | instid1(VALU_DEP_2)
	v_readfirstlane_b32 s12, v2
	v_readfirstlane_b32 s17, v1
	s_delay_alu instid0(VALU_DEP_2) | instskip(NEXT) | instid1(VALU_DEP_1)
	s_mul_i32 s21, s18, s12
	s_mul_hi_u32 s23, s18, s17
	s_mul_i32 s22, s19, s17
	s_add_i32 s21, s23, s21
	s_mul_i32 s24, s18, s17
	s_add_i32 s21, s21, s22
	s_mul_hi_u32 s23, s17, s24
	s_mul_hi_u32 s25, s12, s24
	s_mul_i32 s22, s12, s24
	s_mul_hi_u32 s24, s17, s21
	s_mul_i32 s17, s17, s21
	s_mul_hi_u32 s26, s12, s21
	s_add_u32 s17, s23, s17
	s_addc_u32 s23, 0, s24
	s_add_u32 s17, s17, s22
	s_mul_i32 s21, s12, s21
	s_addc_u32 s17, s23, s25
	s_addc_u32 s22, s26, 0
	s_add_u32 s17, s17, s21
	s_addc_u32 s21, 0, s22
	v_add_co_u32 v1, s17, v1, s17
	s_delay_alu instid0(VALU_DEP_1) | instskip(SKIP_1) | instid1(VALU_DEP_1)
	s_cmp_lg_u32 s17, 0
	s_addc_u32 s12, s12, s21
	v_readfirstlane_b32 s17, v1
	s_mul_i32 s21, s18, s12
	s_delay_alu instid0(VALU_DEP_1)
	s_mul_hi_u32 s22, s18, s17
	s_mul_i32 s19, s19, s17
	s_add_i32 s21, s22, s21
	s_mul_i32 s18, s18, s17
	s_add_i32 s21, s21, s19
	s_mul_hi_u32 s22, s12, s18
	s_mul_i32 s23, s12, s18
	s_mul_hi_u32 s18, s17, s18
	s_mul_hi_u32 s24, s17, s21
	s_mul_i32 s17, s17, s21
	s_mul_hi_u32 s19, s12, s21
	s_add_u32 s17, s18, s17
	s_addc_u32 s18, 0, s24
	s_add_u32 s17, s17, s23
	s_mul_i32 s21, s12, s21
	s_addc_u32 s17, s18, s22
	s_addc_u32 s18, s19, 0
	s_add_u32 s17, s17, s21
	s_addc_u32 s18, 0, s18
	v_add_co_u32 v1, s17, v1, s17
	s_delay_alu instid0(VALU_DEP_1) | instskip(SKIP_2) | instid1(SALU_CYCLE_1)
	s_cmp_lg_u32 s17, 0
	s_addc_u32 s12, s12, s18
	s_ashr_i32 s18, s3, 31
	s_add_u32 s22, s11, s18
	s_addc_u32 s23, s3, s18
	v_readfirstlane_b32 s3, v1
	s_mov_b32 s19, s18
	s_delay_alu instid0(SALU_CYCLE_1) | instskip(NEXT) | instid1(SALU_CYCLE_1)
	s_xor_b64 s[22:23], s[22:23], s[18:19]
	s_mul_i32 s21, s22, s12
	s_delay_alu instid0(VALU_DEP_1)
	s_mul_hi_u32 s24, s22, s3
	s_mul_hi_u32 s17, s22, s12
	;; [unrolled: 1-line block ×3, first 2 shown]
	s_mul_i32 s3, s23, s3
	s_add_u32 s21, s24, s21
	s_addc_u32 s17, 0, s17
	s_mul_hi_u32 s25, s23, s12
	s_add_u32 s3, s21, s3
	s_mul_i32 s12, s23, s12
	s_addc_u32 s3, s17, s26
	s_addc_u32 s17, s25, 0
	s_add_u32 s3, s3, s12
	s_addc_u32 s12, 0, s17
	s_mul_i32 s21, s20, s3
	s_add_u32 s17, s3, 1
	v_sub_co_u32 v1, s21, s22, s21
	s_mul_hi_u32 s22, s20, s3
	s_addc_u32 s24, s12, 0
	s_mul_i32 s25, s20, s12
	s_delay_alu instid0(VALU_DEP_1)
	v_sub_co_u32 v2, s26, v1, s20
	s_add_u32 s27, s3, 2
	s_addc_u32 s28, s12, 0
	s_add_i32 s22, s22, s25
	s_cmp_lg_u32 s21, 0
	v_readfirstlane_b32 s21, v2
	s_subb_u32 s22, s23, s22
	s_cmp_lg_u32 s26, 0
	s_subb_u32 s23, s22, 0
	s_delay_alu instid0(VALU_DEP_1) | instskip(SKIP_4) | instid1(SALU_CYCLE_1)
	s_cmp_ge_u32 s21, s20
	s_cselect_b32 s21, -1, 0
	s_cmp_eq_u32 s23, 0
	v_readfirstlane_b32 s23, v1
	s_cselect_b32 s21, s21, -1
	s_cmp_lg_u32 s21, 0
	s_cselect_b32 s17, s27, s17
	s_cselect_b32 s21, s28, s24
	s_cmp_ge_u32 s23, s20
	s_cselect_b32 s23, -1, 0
	s_cmp_eq_u32 s22, 0
	s_cselect_b32 s22, s23, -1
	s_delay_alu instid0(SALU_CYCLE_1) | instskip(SKIP_2) | instid1(SALU_CYCLE_1)
	s_cmp_lg_u32 s22, 0
	s_cselect_b32 s23, s21, s12
	s_cselect_b32 s22, s17, s3
	s_xor_b64 s[22:23], s[22:23], s[18:19]
	s_delay_alu instid0(SALU_CYCLE_1)
	s_sub_u32 s18, s22, s18
	s_and_not1_b32 vcc_lo, exec_lo, s2
	s_cbranch_vccnz .LBB12_6
.LBB12_5:
	v_cvt_f32_u32_e32 v1, s20
	s_sub_i32 s3, 0, s20
	s_delay_alu instid0(VALU_DEP_1) | instskip(SKIP_2) | instid1(VALU_DEP_1)
	v_rcp_iflag_f32_e32 v1, v1
	s_waitcnt_depctr 0xfff
	v_mul_f32_e32 v1, 0x4f7ffffe, v1
	v_cvt_u32_f32_e32 v1, v1
	s_delay_alu instid0(VALU_DEP_1) | instskip(NEXT) | instid1(VALU_DEP_1)
	v_readfirstlane_b32 s2, v1
	s_mul_i32 s3, s3, s2
	s_delay_alu instid0(SALU_CYCLE_1) | instskip(NEXT) | instid1(SALU_CYCLE_1)
	s_mul_hi_u32 s3, s2, s3
	s_add_i32 s2, s2, s3
	s_delay_alu instid0(SALU_CYCLE_1) | instskip(NEXT) | instid1(SALU_CYCLE_1)
	s_mul_hi_u32 s2, s11, s2
	s_mul_i32 s3, s2, s20
	s_delay_alu instid0(SALU_CYCLE_1)
	s_sub_i32 s3, s11, s3
	s_add_i32 s11, s2, 1
	s_sub_i32 s12, s3, s20
	s_cmp_ge_u32 s3, s20
	s_cselect_b32 s2, s11, s2
	s_cselect_b32 s3, s12, s3
	s_add_i32 s11, s2, 1
	s_cmp_ge_u32 s3, s20
	s_cselect_b32 s18, s11, s2
.LBB12_6:
	s_delay_alu instid0(SALU_CYCLE_1) | instskip(SKIP_3) | instid1(SALU_CYCLE_1)
	s_cmp_eq_u32 s16, s18
	s_mul_hi_u32 s2, s16, s8
	s_cselect_b32 s3, -1, 0
	s_add_i32 s2, s2, s16
	s_lshr_b32 s11, s2, s9
	s_delay_alu instid0(SALU_CYCLE_1) | instskip(NEXT) | instid1(SALU_CYCLE_1)
	s_mul_i32 s2, s11, s10
	s_cmp_eq_u32 s2, s16
	s_mul_hi_u32 s2, s18, s8
	s_cselect_b32 s12, -1, 0
	s_add_i32 s2, s2, s18
	s_delay_alu instid0(SALU_CYCLE_1) | instskip(NEXT) | instid1(SALU_CYCLE_1)
	s_lshr_b32 s2, s2, s9
	s_cmp_eq_u32 s11, s2
	s_mul_i32 s2, s2, s10
	s_cselect_b32 s17, -1, 0
	s_cmp_lg_u32 s2, s18
	s_cselect_b32 s2, -1, 0
	s_or_b32 s3, s3, s12
	s_and_b32 s2, s17, s2
	s_delay_alu instid0(SALU_CYCLE_1) | instskip(NEXT) | instid1(SALU_CYCLE_1)
	s_or_b32 s2, s3, s2
	s_and_b32 vcc_lo, exec_lo, s2
	s_cbranch_vccnz .LBB12_24
; %bb.7:
	s_load_b256 s[24:31], s[0:1], 0x20
	s_waitcnt lgkmcnt(0)
	s_mul_hi_u32 s2, s16, s24
	s_delay_alu instid0(SALU_CYCLE_1) | instskip(NEXT) | instid1(SALU_CYCLE_1)
	s_add_i32 s2, s2, s16
	s_lshr_b32 s17, s2, s25
	s_load_b32 s2, s[0:1], 0x40
	s_mul_i32 s3, s17, s26
	s_delay_alu instid0(SALU_CYCLE_1) | instskip(NEXT) | instid1(SALU_CYCLE_1)
	s_sub_i32 s3, s16, s3
	s_mul_hi_u32 s12, s3, s27
	s_delay_alu instid0(SALU_CYCLE_1) | instskip(NEXT) | instid1(SALU_CYCLE_1)
	s_add_i32 s12, s3, s12
	s_lshr_b32 s19, s12, s28
	s_delay_alu instid0(SALU_CYCLE_1) | instskip(NEXT) | instid1(SALU_CYCLE_1)
	s_mul_i32 s12, s19, s29
	s_sub_i32 s3, s3, s12
	s_delay_alu instid0(SALU_CYCLE_1) | instskip(NEXT) | instid1(SALU_CYCLE_1)
	s_mul_hi_u32 s12, s3, s30
	s_add_i32 s12, s3, s12
	s_delay_alu instid0(SALU_CYCLE_1) | instskip(SKIP_3) | instid1(SALU_CYCLE_1)
	s_lshr_b32 s21, s12, s31
	s_mov_b32 s12, 0
	s_waitcnt lgkmcnt(0)
	s_mul_i32 s2, s21, s2
	s_sub_i32 s2, s3, s2
	s_delay_alu instid0(SALU_CYCLE_1) | instskip(NEXT) | instid1(SALU_CYCLE_1)
	s_mul_hi_u32 s3, s2, s8
	s_add_i32 s2, s2, s3
	s_delay_alu instid0(SALU_CYCLE_1) | instskip(NEXT) | instid1(SALU_CYCLE_1)
	s_lshr_b32 s18, s2, s9
	s_lshl_b32 s2, s18, 6
	s_delay_alu instid0(SALU_CYCLE_1) | instskip(NEXT) | instid1(SALU_CYCLE_1)
	s_add_i32 s2, s2, s14
	s_cmp_lt_i32 s2, s4
	s_cselect_b32 s2, -1, 0
	s_add_i32 s21, s21, s15
	s_delay_alu instid0(SALU_CYCLE_1) | instskip(SKIP_1) | instid1(SALU_CYCLE_1)
	s_cmp_lt_i32 s21, s6
	s_cselect_b32 s3, -1, 0
	s_and_b32 s2, s2, s3
	s_delay_alu instid0(SALU_CYCLE_1)
	s_and_not1_b32 vcc_lo, exec_lo, s2
	s_cbranch_vccnz .LBB12_24
; %bb.8:
	s_load_b128 s[0:3], s[0:1], 0x0
	s_lshl_b32 s22, s20, 8
	s_mov_b32 s23, s12
	s_add_i32 s15, s14, s15
	s_lshl_b64 s[22:23], s[22:23], 2
	s_mul_i32 s4, s17, s4
	s_mul_i32 s19, s19, s6
	v_cvt_f32_ubyte0_e32 v3, 0
	v_cvt_f32_u32_e32 v4, s20
	s_waitcnt lgkmcnt(0)
	s_add_u32 s6, s2, s22
	s_addc_u32 s17, s3, s23
	s_add_i32 s4, s4, s14
	s_add_i32 s14, s21, s19
	s_mul_i32 s4, s4, s5
	s_mul_i32 s5, s5, s18
	s_add_i32 s4, s14, s4
	s_mulk_i32 s5, 0x1400
	s_mulk_i32 s4, 0x50
	s_delay_alu instid0(SALU_CYCLE_1) | instskip(NEXT) | instid1(VALU_DEP_1)
	v_add3_u32 v1, s5, s4, v0
	v_ashrrev_i32_e32 v2, 31, v1
	s_delay_alu instid0(VALU_DEP_1) | instskip(NEXT) | instid1(VALU_DEP_1)
	v_lshlrev_b64 v[1:2], 2, v[1:2]
	v_add_co_u32 v1, vcc_lo, s0, v1
	s_delay_alu instid0(VALU_DEP_2) | instskip(SKIP_1) | instid1(SALU_CYCLE_1)
	v_add_co_ci_u32_e32 v2, vcc_lo, s1, v2, vcc_lo
	s_lshl_b32 s0, s13, 6
	s_add_i32 s0, s0, s15
	global_load_b32 v5, v[1:2], off
	s_ashr_i32 s1, s0, 31
	s_delay_alu instid0(SALU_CYCLE_1) | instskip(NEXT) | instid1(SALU_CYCLE_1)
	s_lshl_b64 s[0:1], s[0:1], 3
	s_add_u32 s0, s2, s0
	s_addc_u32 s1, s3, s1
	s_add_i32 s18, s13, -1
	s_load_b64 s[0:1], s[0:1], 0x0
	v_fmac_f32_e32 v4, 0x4f800000, v3
	s_sub_i32 s14, 0, s20
	s_delay_alu instid0(VALU_DEP_1)
	v_rcp_f32_e32 v3, v4
	s_waitcnt_depctr 0xfff
	v_mul_f32_e32 v6, 0x5f7ffffc, v3
	v_cvt_f32_u32_e32 v3, s20
	s_waitcnt lgkmcnt(0)
	v_mov_b32_e32 v8, s0
	s_delay_alu instid0(VALU_DEP_3) | instskip(NEXT) | instid1(VALU_DEP_3)
	v_mul_f32_e32 v4, 0x2f800000, v6
	v_rcp_iflag_f32_e32 v7, v3
	s_delay_alu instid0(VALU_DEP_1) | instskip(SKIP_1) | instid1(VALU_DEP_2)
	v_trunc_f32_e32 v9, v4
	v_mad_u64_u32 v[3:4], null, 0x50, s15, v[0:1]
	v_fmac_f32_e32 v6, 0xcf800000, v9
	s_waitcnt_depctr 0xfff
	v_dual_mul_f32 v10, 0x4f7ffffe, v7 :: v_dual_mov_b32 v7, s1
	v_cvt_u32_f32_e32 v4, v9
	v_cvt_u32_f32_e32 v0, v6
	s_delay_alu instid0(VALU_DEP_3)
	v_cvt_u32_f32_e32 v6, v10
.LBB12_9:                               ; =>This Inner Loop Header: Depth=1
	s_mul_hi_i32 s13, s18, s7
	s_mul_i32 s4, s18, s7
	s_cmp_lg_u64 s[12:13], 0
	s_mov_b32 s5, -1
                                        ; implicit-def: $sgpr0_sgpr1
	s_cbranch_scc0 .LBB12_11
; %bb.10:                               ;   in Loop: Header=BB12_9 Depth=1
	v_readfirstlane_b32 s0, v0
	v_readfirstlane_b32 s1, v4
	s_sub_u32 s5, 0, s20
	s_subb_u32 s19, 0, 0
	s_delay_alu instid0(VALU_DEP_2) | instskip(NEXT) | instid1(VALU_DEP_1)
	s_mul_hi_u32 s21, s5, s0
	s_mul_i32 s22, s5, s1
	s_mul_i32 s23, s19, s0
	s_add_i32 s21, s21, s22
	s_mul_i32 s22, s5, s0
	s_add_i32 s21, s21, s23
	s_mul_hi_u32 s23, s0, s22
	s_mul_i32 s24, s0, s21
	s_mul_hi_u32 s0, s0, s21
	s_add_u32 s23, s23, s24
	s_mul_i32 s25, s1, s22
	s_addc_u32 s0, 0, s0
	s_mul_hi_u32 s22, s1, s22
	s_mul_hi_u32 s24, s1, s21
	s_add_u32 s23, s23, s25
	s_addc_u32 s0, s0, s22
	s_mul_i32 s21, s1, s21
	s_addc_u32 s22, s24, 0
	s_add_u32 s0, s0, s21
	s_addc_u32 s21, 0, s22
	v_add_co_u32 v9, s0, v0, s0
	s_delay_alu instid0(VALU_DEP_1) | instskip(SKIP_1) | instid1(VALU_DEP_1)
	s_cmp_lg_u32 s0, 0
	s_addc_u32 s1, s1, s21
	v_readfirstlane_b32 s0, v9
	s_mul_i32 s21, s5, s1
	s_delay_alu instid0(VALU_DEP_1)
	s_mul_hi_u32 s22, s5, s0
	s_mul_i32 s19, s19, s0
	s_add_i32 s21, s22, s21
	s_mul_i32 s5, s5, s0
	s_add_i32 s21, s21, s19
	s_mul_hi_u32 s19, s1, s5
	s_mul_i32 s23, s1, s5
	s_mul_i32 s24, s0, s21
	s_mul_hi_u32 s5, s0, s5
	s_mul_hi_u32 s0, s0, s21
	s_add_u32 s5, s5, s24
	s_addc_u32 s0, 0, s0
	s_mul_hi_u32 s22, s1, s21
	s_add_u32 s5, s5, s23
	s_addc_u32 s0, s0, s19
	s_mul_i32 s5, s1, s21
	s_addc_u32 s19, s22, 0
	s_add_u32 s0, s0, s5
	s_addc_u32 s5, 0, s19
	v_add_co_u32 v9, s0, v9, s0
	s_delay_alu instid0(VALU_DEP_1) | instskip(SKIP_2) | instid1(SALU_CYCLE_1)
	s_cmp_lg_u32 s0, 0
	s_addc_u32 s5, s1, s5
	s_ashr_i32 s0, s13, 31
	s_add_u32 s22, s4, s0
	s_addc_u32 s23, s13, s0
	v_readfirstlane_b32 s13, v9
	s_mov_b32 s1, s0
	s_delay_alu instid0(SALU_CYCLE_1) | instskip(NEXT) | instid1(SALU_CYCLE_1)
	s_xor_b64 s[22:23], s[22:23], s[0:1]
	s_mul_i32 s19, s22, s5
	s_delay_alu instid0(VALU_DEP_1)
	s_mul_hi_u32 s21, s22, s13
	s_mul_hi_u32 s24, s22, s5
	s_add_u32 s19, s21, s19
	s_mul_i32 s25, s23, s13
	s_addc_u32 s21, 0, s24
	s_mul_hi_u32 s13, s23, s13
	s_mul_hi_u32 s24, s23, s5
	s_add_u32 s19, s19, s25
	s_addc_u32 s13, s21, s13
	s_mul_i32 s5, s23, s5
	s_addc_u32 s19, s24, 0
	s_add_u32 s5, s13, s5
	s_addc_u32 s13, 0, s19
	s_mul_i32 s21, s20, s5
	s_add_u32 s19, s5, 1
	v_sub_co_u32 v9, s21, s22, s21
	s_addc_u32 s22, s13, 0
	s_mul_i32 s25, s20, s13
	s_mul_hi_u32 s27, s20, s5
	s_delay_alu instid0(VALU_DEP_1)
	v_sub_co_u32 v10, s26, v9, s20
	s_add_u32 s24, s5, 2
	s_addc_u32 s28, s13, 0
	s_add_i32 s27, s27, s25
	s_cmp_lg_u32 s21, 0
	v_readfirstlane_b32 s21, v10
	s_subb_u32 s23, s23, s27
	s_cmp_lg_u32 s26, 0
	s_subb_u32 s25, s23, 0
	s_delay_alu instid0(VALU_DEP_1) | instskip(SKIP_4) | instid1(SALU_CYCLE_1)
	s_cmp_ge_u32 s21, s20
	s_cselect_b32 s21, -1, 0
	s_cmp_eq_u32 s25, 0
	v_readfirstlane_b32 s25, v9
	s_cselect_b32 s21, s21, -1
	s_cmp_lg_u32 s21, 0
	s_cselect_b32 s19, s24, s19
	s_cselect_b32 s21, s28, s22
	s_cmp_ge_u32 s25, s20
	s_cselect_b32 s22, -1, 0
	s_cmp_eq_u32 s23, 0
	s_cselect_b32 s22, s22, -1
	s_delay_alu instid0(SALU_CYCLE_1) | instskip(SKIP_4) | instid1(SALU_CYCLE_1)
	s_cmp_lg_u32 s22, 0
	s_cselect_b32 s23, s21, s13
	s_cselect_b32 s22, s19, s5
	s_mov_b32 s5, 0
	s_xor_b64 s[22:23], s[22:23], s[0:1]
	s_sub_u32 s0, s22, s0
.LBB12_11:                              ;   in Loop: Header=BB12_9 Depth=1
	s_and_not1_b32 vcc_lo, exec_lo, s5
	s_cbranch_vccnz .LBB12_13
; %bb.12:                               ;   in Loop: Header=BB12_9 Depth=1
	v_readfirstlane_b32 s0, v6
	s_delay_alu instid0(VALU_DEP_1) | instskip(NEXT) | instid1(SALU_CYCLE_1)
	s_mul_i32 s1, s14, s0
	s_mul_hi_u32 s1, s0, s1
	s_delay_alu instid0(SALU_CYCLE_1) | instskip(NEXT) | instid1(SALU_CYCLE_1)
	s_add_i32 s0, s0, s1
	s_mul_hi_u32 s0, s4, s0
	s_delay_alu instid0(SALU_CYCLE_1) | instskip(NEXT) | instid1(SALU_CYCLE_1)
	s_mul_i32 s1, s0, s20
	s_sub_i32 s1, s4, s1
	s_add_i32 s4, s0, 1
	s_sub_i32 s5, s1, s20
	s_cmp_ge_u32 s1, s20
	s_cselect_b32 s0, s4, s0
	s_cselect_b32 s1, s5, s1
	s_add_i32 s4, s0, 1
	s_cmp_ge_u32 s1, s20
	s_cselect_b32 s0, s4, s0
.LBB12_13:                              ;   in Loop: Header=BB12_9 Depth=1
	s_delay_alu instid0(SALU_CYCLE_1)
	s_cmp_lg_u32 s16, s0
	s_cbranch_scc0 .LBB12_17
; %bb.14:                               ;   in Loop: Header=BB12_9 Depth=1
	s_add_i32 s1, s18, s20
	s_mov_b32 s5, s12
	s_lshl_b32 s1, s1, 6
	s_mov_b32 s19, s16
	s_add_i32 s4, s1, s15
	s_mul_hi_u32 s1, s0, s8
	s_lshl_b64 s[4:5], s[4:5], 3
	s_delay_alu instid0(SALU_CYCLE_1) | instskip(SKIP_2) | instid1(SALU_CYCLE_1)
	s_add_u32 s4, s2, s4
	s_addc_u32 s5, s3, s5
	s_add_i32 s1, s1, s0
	s_lshr_b32 s1, s1, s9
	s_delay_alu instid0(SALU_CYCLE_1) | instskip(NEXT) | instid1(SALU_CYCLE_1)
	s_mul_i32 s13, s1, s10
	s_cmp_eq_u32 s13, s0
	s_cselect_b32 s13, -1, 0
	s_cmp_lt_u32 s1, s11
	s_cselect_b32 s1, -1, 0
	s_delay_alu instid0(SALU_CYCLE_1)
	s_or_b32 s1, s1, s13
	s_mov_b32 s13, -1
	s_and_b32 vcc_lo, exec_lo, s1
	s_mov_b32 s1, s18
	s_cbranch_vccnz .LBB12_16
; %bb.15:                               ;   in Loop: Header=BB12_9 Depth=1
	s_add_i32 s1, s18, -1
	s_mov_b32 s13, 0
	s_mov_b32 s19, s0
.LBB12_16:                              ;   in Loop: Header=BB12_9 Depth=1
	v_mad_u64_u32 v[9:10], null, 0x1400, s18, v[3:4]
	s_load_b64 s[4:5], s[4:5], 0x0
	s_delay_alu instid0(VALU_DEP_1) | instskip(NEXT) | instid1(VALU_DEP_1)
	v_ashrrev_i32_e32 v10, 31, v9
	v_lshlrev_b64 v[9:10], 2, v[9:10]
	s_delay_alu instid0(VALU_DEP_1) | instskip(NEXT) | instid1(VALU_DEP_2)
	v_add_co_u32 v9, vcc_lo, s6, v9
	v_add_co_ci_u32_e32 v10, vcc_lo, s17, v10, vcc_lo
	s_waitcnt lgkmcnt(0)
	v_max_f32_e64 v11, s4, s4
	global_load_b32 v10, v[9:10], off
	v_max_f32_e32 v9, v8, v8
	s_delay_alu instid0(VALU_DEP_1) | instskip(NEXT) | instid1(VALU_DEP_1)
	v_max_f32_e32 v9, v9, v11
	v_sub_f32_e32 v12, v8, v9
	s_delay_alu instid0(VALU_DEP_1) | instskip(NEXT) | instid1(VALU_DEP_1)
	v_dual_mul_f32 v14, 0x3fb8aa3b, v12 :: v_dual_sub_f32 v11, s4, v9
	v_rndne_f32_e32 v18, v14
	s_delay_alu instid0(VALU_DEP_2) | instskip(SKIP_2) | instid1(VALU_DEP_4)
	v_mul_f32_e32 v13, 0x3fb8aa3b, v11
	v_fma_f32 v17, 0x3fb8aa3b, v12, -v14
	v_cmp_ngt_f32_e32 vcc_lo, 0xc2ce8ed0, v11
	v_sub_f32_e32 v14, v14, v18
	s_delay_alu instid0(VALU_DEP_4) | instskip(SKIP_2) | instid1(VALU_DEP_3)
	v_fma_f32 v15, 0x3fb8aa3b, v11, -v13
	v_rndne_f32_e32 v16, v13
	v_fmac_f32_e32 v17, 0x32a5705f, v12
	v_fmac_f32_e32 v15, 0x32a5705f, v11
	s_delay_alu instid0(VALU_DEP_2) | instskip(NEXT) | instid1(VALU_DEP_1)
	v_dual_sub_f32 v13, v13, v16 :: v_dual_add_f32 v14, v14, v17
	v_add_f32_e32 v13, v13, v15
	s_delay_alu instid0(VALU_DEP_2) | instskip(SKIP_2) | instid1(VALU_DEP_3)
	v_exp_f32_e32 v14, v14
	v_cvt_i32_f32_e32 v15, v16
	v_cvt_i32_f32_e32 v16, v18
	v_exp_f32_e32 v13, v13
	s_waitcnt_depctr 0xfff
	v_ldexp_f32 v14, v14, v16
	v_ldexp_f32 v13, v13, v15
	s_delay_alu instid0(VALU_DEP_1) | instskip(SKIP_1) | instid1(VALU_DEP_4)
	v_cndmask_b32_e32 v13, 0, v13, vcc_lo
	v_cmp_ngt_f32_e32 vcc_lo, 0xc2ce8ed0, v12
	v_cndmask_b32_e32 v14, 0, v14, vcc_lo
	v_cmp_nlt_f32_e32 vcc_lo, 0x42b17218, v11
	s_delay_alu instid0(VALU_DEP_4) | instskip(SKIP_1) | instid1(VALU_DEP_4)
	v_cndmask_b32_e32 v13, 0x7f800000, v13, vcc_lo
	v_cmp_nlt_f32_e32 vcc_lo, 0x42b17218, v12
	v_cndmask_b32_e32 v14, 0x7f800000, v14, vcc_lo
	v_cmp_le_f32_e32 vcc_lo, 0xc1a00000, v11
	s_delay_alu instid0(VALU_DEP_4) | instskip(SKIP_1) | instid1(VALU_DEP_4)
	v_cndmask_b32_e32 v11, 0, v13, vcc_lo
	v_cmp_le_f32_e32 vcc_lo, 0xc1a00000, v12
	v_cndmask_b32_e32 v12, 0, v14, vcc_lo
	s_waitcnt vmcnt(0)
	s_delay_alu instid0(VALU_DEP_3) | instskip(NEXT) | instid1(VALU_DEP_1)
	v_mul_f32_e32 v10, v10, v11
	v_dual_mul_f32 v11, s5, v11 :: v_dual_fmac_f32 v10, v5, v12
	s_delay_alu instid0(VALU_DEP_1)
	v_fmac_f32_e32 v11, v7, v12
	s_cbranch_execz .LBB12_18
	s_branch .LBB12_19
.LBB12_17:                              ;   in Loop: Header=BB12_9 Depth=1
                                        ; implicit-def: $sgpr13
                                        ; implicit-def: $vgpr10
                                        ; implicit-def: $vgpr9
                                        ; implicit-def: $vgpr11
                                        ; implicit-def: $sgpr1
                                        ; implicit-def: $sgpr19
.LBB12_18:                              ;   in Loop: Header=BB12_9 Depth=1
	s_waitcnt vmcnt(0)
	v_dual_mov_b32 v11, v7 :: v_dual_mov_b32 v10, v5
	v_mov_b32_e32 v9, v8
	s_add_i32 s1, s18, -1
	s_mov_b32 s13, 0
	s_mov_b32 s19, s16
.LBB12_19:                              ;   in Loop: Header=BB12_9 Depth=1
	s_and_not1_b32 vcc_lo, exec_lo, s13
	s_cbranch_vccz .LBB12_23
; %bb.20:                               ;   in Loop: Header=BB12_9 Depth=1
	v_dual_mov_b32 v7, v11 :: v_dual_mov_b32 v8, v9
	s_waitcnt vmcnt(0)
	v_mov_b32_e32 v5, v10
	s_mov_b32 s16, s19
	s_mov_b32 s18, s1
	s_branch .LBB12_9
.LBB12_21:
                                        ; implicit-def: $sgpr16_sgpr17
	s_load_b128 s[8:11], s[0:1], 0x44
	s_branch .LBB12_2
.LBB12_22:
                                        ; implicit-def: $sgpr18_sgpr19
	s_branch .LBB12_5
.LBB12_23:
	v_div_scale_f32 v0, null, v11, v11, v10
	s_delay_alu instid0(VALU_DEP_1) | instskip(SKIP_2) | instid1(VALU_DEP_1)
	v_rcp_f32_e32 v3, v0
	s_waitcnt_depctr 0xfff
	v_fma_f32 v4, -v0, v3, 1.0
	v_fmac_f32_e32 v3, v4, v3
	v_div_scale_f32 v4, vcc_lo, v10, v11, v10
	s_waitcnt vmcnt(0)
	s_delay_alu instid0(VALU_DEP_1) | instskip(NEXT) | instid1(VALU_DEP_1)
	v_mul_f32_e32 v5, v4, v3
	v_fma_f32 v6, -v0, v5, v4
	s_delay_alu instid0(VALU_DEP_1) | instskip(NEXT) | instid1(VALU_DEP_1)
	v_fmac_f32_e32 v5, v6, v3
	v_fma_f32 v0, -v0, v5, v4
	s_delay_alu instid0(VALU_DEP_1) | instskip(NEXT) | instid1(VALU_DEP_1)
	v_div_fmas_f32 v0, v0, v3, v5
	v_div_fixup_f32 v0, v0, v11, v10
	global_store_b32 v[1:2], v0, off
.LBB12_24:
	s_nop 0
	s_sendmsg sendmsg(MSG_DEALLOC_VGPRS)
	s_endpgm
	.section	.rodata,"a",@progbits
	.p2align	6, 0x0
	.amdhsa_kernel _ZL33flash_attn_stream_k_fixup_generalILi80ELi64ELi1EEvPfPK15HIP_vector_typeIfLj2EEiiiiS1_IjLj3EES5_S5_S5_
		.amdhsa_group_segment_fixed_size 0
		.amdhsa_private_segment_fixed_size 0
		.amdhsa_kernarg_size 336
		.amdhsa_user_sgpr_count 13
		.amdhsa_user_sgpr_dispatch_ptr 0
		.amdhsa_user_sgpr_queue_ptr 0
		.amdhsa_user_sgpr_kernarg_segment_ptr 1
		.amdhsa_user_sgpr_dispatch_id 0
		.amdhsa_user_sgpr_private_segment_size 0
		.amdhsa_wavefront_size32 1
		.amdhsa_uses_dynamic_stack 0
		.amdhsa_enable_private_segment 0
		.amdhsa_system_sgpr_workgroup_id_x 1
		.amdhsa_system_sgpr_workgroup_id_y 1
		.amdhsa_system_sgpr_workgroup_id_z 1
		.amdhsa_system_sgpr_workgroup_info 0
		.amdhsa_system_vgpr_workitem_id 0
		.amdhsa_next_free_vgpr 19
		.amdhsa_next_free_sgpr 32
		.amdhsa_reserve_vcc 1
		.amdhsa_float_round_mode_32 0
		.amdhsa_float_round_mode_16_64 0
		.amdhsa_float_denorm_mode_32 3
		.amdhsa_float_denorm_mode_16_64 3
		.amdhsa_dx10_clamp 1
		.amdhsa_ieee_mode 1
		.amdhsa_fp16_overflow 0
		.amdhsa_workgroup_processor_mode 1
		.amdhsa_memory_ordered 1
		.amdhsa_forward_progress 0
		.amdhsa_shared_vgpr_count 0
		.amdhsa_exception_fp_ieee_invalid_op 0
		.amdhsa_exception_fp_denorm_src 0
		.amdhsa_exception_fp_ieee_div_zero 0
		.amdhsa_exception_fp_ieee_overflow 0
		.amdhsa_exception_fp_ieee_underflow 0
		.amdhsa_exception_fp_ieee_inexact 0
		.amdhsa_exception_int_div_zero 0
	.end_amdhsa_kernel
	.section	.text._ZL33flash_attn_stream_k_fixup_generalILi80ELi64ELi1EEvPfPK15HIP_vector_typeIfLj2EEiiiiS1_IjLj3EES5_S5_S5_,"axG",@progbits,_ZL33flash_attn_stream_k_fixup_generalILi80ELi64ELi1EEvPfPK15HIP_vector_typeIfLj2EEiiiiS1_IjLj3EES5_S5_S5_,comdat
.Lfunc_end12:
	.size	_ZL33flash_attn_stream_k_fixup_generalILi80ELi64ELi1EEvPfPK15HIP_vector_typeIfLj2EEiiiiS1_IjLj3EES5_S5_S5_, .Lfunc_end12-_ZL33flash_attn_stream_k_fixup_generalILi80ELi64ELi1EEvPfPK15HIP_vector_typeIfLj2EEiiiiS1_IjLj3EES5_S5_S5_
                                        ; -- End function
	.section	.AMDGPU.csdata,"",@progbits
; Kernel info:
; codeLenInByte = 3220
; NumSgprs: 34
; NumVgprs: 19
; ScratchSize: 0
; MemoryBound: 0
; FloatMode: 240
; IeeeMode: 1
; LDSByteSize: 0 bytes/workgroup (compile time only)
; SGPRBlocks: 4
; VGPRBlocks: 2
; NumSGPRsForWavesPerEU: 34
; NumVGPRsForWavesPerEU: 19
; Occupancy: 16
; WaveLimiterHint : 0
; COMPUTE_PGM_RSRC2:SCRATCH_EN: 0
; COMPUTE_PGM_RSRC2:USER_SGPR: 13
; COMPUTE_PGM_RSRC2:TRAP_HANDLER: 0
; COMPUTE_PGM_RSRC2:TGID_X_EN: 1
; COMPUTE_PGM_RSRC2:TGID_Y_EN: 1
; COMPUTE_PGM_RSRC2:TGID_Z_EN: 1
; COMPUTE_PGM_RSRC2:TIDIG_COMP_CNT: 0
	.section	.text._ZL26flash_attn_combine_resultsILi80EEvPKfPK15HIP_vector_typeIfLj2EEPfi,"axG",@progbits,_ZL26flash_attn_combine_resultsILi80EEvPKfPK15HIP_vector_typeIfLj2EEPfi,comdat
	.globl	_ZL26flash_attn_combine_resultsILi80EEvPKfPK15HIP_vector_typeIfLj2EEPfi ; -- Begin function _ZL26flash_attn_combine_resultsILi80EEvPKfPK15HIP_vector_typeIfLj2EEPfi
	.p2align	8
	.type	_ZL26flash_attn_combine_resultsILi80EEvPKfPK15HIP_vector_typeIfLj2EEPfi,@function
_ZL26flash_attn_combine_resultsILi80EEvPKfPK15HIP_vector_typeIfLj2EEPfi: ; @_ZL26flash_attn_combine_resultsILi80EEvPKfPK15HIP_vector_typeIfLj2EEPfi
; %bb.0:
	s_clause 0x3
	s_load_b64 s[2:3], s[0:1], 0x20
	s_load_b32 s12, s[0:1], 0x18
	s_load_b128 s[8:11], s[0:1], 0x0
	s_load_b64 s[16:17], s[0:1], 0x10
	v_lshlrev_b32_e32 v7, 2, v0
	s_mov_b32 s4, exec_lo
	s_waitcnt lgkmcnt(0)
	s_mul_i32 s0, s2, s15
	s_lshl_b32 s1, s12, 1
	s_add_i32 s0, s0, s13
	s_delay_alu instid0(SALU_CYCLE_1) | instskip(NEXT) | instid1(SALU_CYCLE_1)
	s_mul_i32 s7, s0, s3
	s_add_i32 s7, s7, s14
	s_delay_alu instid0(SALU_CYCLE_1)
	s_mul_i32 s2, s7, s12
	v_cmpx_gt_i32_e64 s1, v0
	s_cbranch_execz .LBB13_3
; %bb.1:
	s_ashr_i32 s3, s2, 31
	v_dual_mov_b32 v4, v0 :: v_dual_add_nc_u32 v3, 0, v7
	s_lshl_b64 s[14:15], s[2:3], 3
	s_delay_alu instid0(SALU_CYCLE_1) | instskip(SKIP_2) | instid1(VALU_DEP_1)
	s_add_u32 s0, s10, s14
	s_addc_u32 s3, s11, s15
	v_add_co_u32 v1, s0, s0, v7
	v_add_co_ci_u32_e64 v2, null, s3, 0, s0
	s_mov_b32 s3, 0
	.p2align	6
.LBB13_2:                               ; =>This Inner Loop Header: Depth=1
	global_load_b32 v5, v[1:2], off
	v_add_nc_u32_e32 v4, 0x50, v4
	v_add_co_u32 v1, vcc_lo, 0x140, v1
	v_add_co_ci_u32_e32 v2, vcc_lo, 0, v2, vcc_lo
	s_delay_alu instid0(VALU_DEP_3) | instskip(NEXT) | instid1(VALU_DEP_1)
	v_cmp_le_i32_e64 s0, s1, v4
	s_or_b32 s3, s0, s3
	s_waitcnt vmcnt(0)
	ds_store_b32 v3, v5
	v_add_nc_u32_e32 v3, 0x140, v3
	s_and_not1_b32 exec_lo, exec_lo, s3
	s_cbranch_execnz .LBB13_2
.LBB13_3:
	s_or_b32 exec_lo, exec_lo, s4
	v_mov_b32_e32 v1, 0
	s_waitcnt lgkmcnt(0)
	s_barrier
	buffer_gl0_inv
	s_cmp_lt_i32 s12, 2
	ds_load_b32 v8, v1
	s_cbranch_scc1 .LBB13_11
; %bb.4:
	s_add_i32 s1, s12, -2
	s_add_i32 s0, s12, -1
	s_cmp_lt_u32 s1, 7
	s_cbranch_scc1 .LBB13_8
; %bb.5:
	s_mov_b32 s3, 0
	s_add_i32 s1, 0, 8
	s_and_b32 s4, s0, -8
	.p2align	6
.LBB13_6:                               ; =>This Inner Loop Header: Depth=1
	v_mov_b32_e32 v9, s1
	s_mov_b32 s5, s3
	s_add_i32 s3, s3, 8
	s_add_i32 s1, s1, 64
	s_cmp_eq_u32 s4, s3
	ds_load_2addr_b32 v[1:2], v9 offset1:2
	ds_load_2addr_b32 v[3:4], v9 offset0:4 offset1:6
	ds_load_2addr_b32 v[5:6], v9 offset0:8 offset1:10
	;; [unrolled: 1-line block ×3, first 2 shown]
	s_waitcnt lgkmcnt(3)
	v_max3_f32 v1, v8, v1, v2
	s_waitcnt lgkmcnt(2)
	s_delay_alu instid0(VALU_DEP_1) | instskip(SKIP_1) | instid1(VALU_DEP_1)
	v_max3_f32 v1, v1, v3, v4
	s_waitcnt lgkmcnt(1)
	v_max3_f32 v1, v1, v5, v6
	s_waitcnt lgkmcnt(0)
	s_delay_alu instid0(VALU_DEP_1)
	v_max3_f32 v8, v1, v9, v10
	s_cbranch_scc0 .LBB13_6
; %bb.7:
	s_add_i32 s1, s5, 9
	s_and_b32 s0, s0, 7
	s_delay_alu instid0(SALU_CYCLE_1)
	s_cmp_eq_u32 s0, 0
	s_cbranch_scc0 .LBB13_9
	s_branch .LBB13_11
.LBB13_8:
	s_mov_b32 s1, 1
	s_and_b32 s0, s0, 7
	s_delay_alu instid0(SALU_CYCLE_1)
	s_cmp_eq_u32 s0, 0
	s_cbranch_scc1 .LBB13_11
.LBB13_9:
	s_lshl_b32 s1, s1, 3
	s_delay_alu instid0(SALU_CYCLE_1)
	s_add_i32 s1, s1, 0
.LBB13_10:                              ; =>This Inner Loop Header: Depth=1
	s_waitcnt lgkmcnt(0)
	s_delay_alu instid0(VALU_DEP_1)
	v_dual_mov_b32 v1, s1 :: v_dual_max_f32 v2, v8, v8
	s_add_i32 s0, s0, -1
	s_add_i32 s1, s1, 8
	s_cmp_lg_u32 s0, 0
	ds_load_b32 v1, v1
	s_waitcnt lgkmcnt(0)
	v_max_f32_e32 v1, v1, v1
	s_delay_alu instid0(VALU_DEP_1)
	v_max_f32_e32 v8, v2, v1
	s_cbranch_scc1 .LBB13_10
.LBB13_11:
	s_cmp_lt_i32 s12, 1
	s_cbranch_scc1 .LBB13_16
; %bb.12:
	s_mul_i32 s10, s2, 0x50
	v_mov_b32_e32 v9, 0
	s_ashr_i32 s11, s10, 31
	s_cmp_lt_u32 s12, 8
	s_mov_b32 s14, 0
	s_cbranch_scc1 .LBB13_17
; %bb.13:
	s_lshl_b64 s[0:1], s[10:11], 2
	v_dual_mov_b32 v6, 0 :: v_dual_add_nc_u32 v3, 0x140, v0
	s_add_u32 s15, s8, s0
	s_addc_u32 s18, s9, s1
	v_add_co_u32 v1, s0, s15, v7
	s_delay_alu instid0(VALU_DEP_1) | instskip(SKIP_1) | instid1(VALU_DEP_3)
	v_add_co_ci_u32_e64 v2, null, s18, 0, s0
	v_dual_mov_b32 v10, 0 :: v_dual_mov_b32 v9, 0
	v_add_co_u32 v1, vcc_lo, 0x140, v1
	s_delay_alu instid0(VALU_DEP_3)
	v_add_co_ci_u32_e32 v2, vcc_lo, 0, v2, vcc_lo
	s_and_b32 s13, s12, 0x7ffffff8
	s_mov_b32 s19, 0
.LBB13_14:                              ; =>This Inner Loop Header: Depth=1
	v_dual_mov_b32 v4, v6 :: v_dual_add_nc_u32 v5, 0xfffffec0, v3
	s_clause 0x1
	global_load_b32 v27, v[1:2], off
	global_load_b32 v28, v[1:2], off offset:320
	s_add_i32 s19, s19, 8
	v_lshlrev_b64 v[11:12], 2, v[5:6]
	v_lshlrev_b64 v[13:14], 2, v[3:4]
	v_add_nc_u32_e32 v5, 0xffffffb0, v3
	s_delay_alu instid0(VALU_DEP_3) | instskip(NEXT) | instid1(VALU_DEP_4)
	v_add_co_u32 v11, vcc_lo, s15, v11
	v_add_co_ci_u32_e32 v12, vcc_lo, s18, v12, vcc_lo
	s_delay_alu instid0(VALU_DEP_3)
	v_lshlrev_b64 v[15:16], 2, v[5:6]
	v_add_co_u32 v13, vcc_lo, s15, v13
	global_load_b32 v29, v[11:12], off
	v_add_nc_u32_e32 v5, 0x50, v3
	v_add_co_ci_u32_e32 v14, vcc_lo, s18, v14, vcc_lo
	v_add_co_u32 v15, vcc_lo, s15, v15
	v_add_co_ci_u32_e32 v16, vcc_lo, s18, v16, vcc_lo
	global_load_b32 v31, v[13:14], off
	v_lshlrev_b64 v[11:12], 2, v[5:6]
	v_add_nc_u32_e32 v5, 0xa0, v3
	global_load_b32 v30, v[15:16], off
	v_lshlrev_b64 v[17:18], 2, v[5:6]
	v_add_nc_u32_e32 v5, 0xf0, v3
	v_add_co_u32 v11, vcc_lo, s15, v11
	v_add_co_ci_u32_e32 v12, vcc_lo, s18, v12, vcc_lo
	s_delay_alu instid0(VALU_DEP_3)
	v_lshlrev_b64 v[4:5], 2, v[5:6]
	v_add_nc_u32_e32 v3, 0x280, v3
	global_load_b32 v32, v[11:12], off
	v_add_co_u32 v11, vcc_lo, s15, v17
	v_add_co_ci_u32_e32 v12, vcc_lo, s18, v18, vcc_lo
	v_add_co_u32 v4, vcc_lo, s15, v4
	v_add_co_ci_u32_e32 v5, vcc_lo, s18, v5, vcc_lo
	s_clause 0x1
	global_load_b32 v33, v[11:12], off
	global_load_b32 v4, v[4:5], off
	v_mov_b32_e32 v5, s14
	ds_load_2addr_b64 v[11:14], v5 offset1:1
	ds_load_2addr_b64 v[15:18], v5 offset0:2 offset1:3
	ds_load_2addr_b64 v[19:22], v5 offset0:4 offset1:5
	ds_load_2addr_b64 v[23:26], v5 offset0:6 offset1:7
	s_add_i32 s14, s14, 64
	s_cmp_eq_u32 s13, s19
	s_waitcnt lgkmcnt(3)
	v_sub_f32_e32 v5, v11, v8
	v_sub_f32_e32 v11, v13, v8
	s_waitcnt lgkmcnt(2)
	v_sub_f32_e32 v13, v15, v8
	v_sub_f32_e32 v15, v17, v8
	;; [unrolled: 3-line block ×3, first 2 shown]
	s_waitcnt lgkmcnt(0)
	s_delay_alu instid0(VALU_DEP_1) | instskip(SKIP_2) | instid1(VALU_DEP_3)
	v_dual_sub_f32 v21, v23, v8 :: v_dual_mul_f32 v38, 0x3fb8aa3b, v19
	v_mul_f32_e32 v34, 0x3fb8aa3b, v11
	v_cmp_ngt_f32_e32 vcc_lo, 0xc2ce8ed0, v11
	v_fma_f32 v51, 0x3fb8aa3b, v19, -v38
	s_delay_alu instid0(VALU_DEP_3) | instskip(SKIP_2) | instid1(VALU_DEP_4)
	v_fma_f32 v43, 0x3fb8aa3b, v11, -v34
	v_rndne_f32_e32 v44, v34
	v_rndne_f32_e32 v52, v38
	v_fmac_f32_e32 v51, 0x32a5705f, v19
	s_delay_alu instid0(VALU_DEP_3) | instskip(SKIP_1) | instid1(VALU_DEP_4)
	v_dual_fmac_f32 v43, 0x32a5705f, v11 :: v_dual_sub_f32 v34, v34, v44
	v_cvt_i32_f32_e32 v44, v44
	v_sub_f32_e32 v38, v38, v52
	v_cvt_i32_f32_e32 v52, v52
	s_delay_alu instid0(VALU_DEP_4)
	v_add_f32_e32 v34, v34, v43
	v_mul_f32_e32 v36, 0x3fb8aa3b, v15
	v_cmp_ngt_f32_e64 s6, 0xc2ce8ed0, v5
	v_cmp_ngt_f32_e64 s1, 0xc2ce8ed0, v15
	v_add_f32_e32 v38, v38, v51
	v_exp_f32_e32 v34, v34
	v_fma_f32 v47, 0x3fb8aa3b, v15, -v36
	v_rndne_f32_e32 v48, v36
	v_cmp_ngt_f32_e64 s3, 0xc2ce8ed0, v19
	v_exp_f32_e32 v38, v38
	s_delay_alu instid0(VALU_DEP_2) | instskip(SKIP_1) | instid1(TRANS32_DEP_2)
	v_dual_fmac_f32 v47, 0x32a5705f, v15 :: v_dual_sub_f32 v36, v36, v48
	v_cvt_i32_f32_e32 v48, v48
	v_ldexp_f32 v34, v34, v44
	v_sub_f32_e32 v23, v25, v8
	s_delay_alu instid0(VALU_DEP_4) | instskip(SKIP_1) | instid1(VALU_DEP_4)
	v_dual_mul_f32 v25, 0x3fb8aa3b, v5 :: v_dual_add_f32 v36, v36, v47
	v_cmp_ngt_f32_e64 s2, 0xc2ce8ed0, v17
	v_cndmask_b32_e32 v34, 0, v34, vcc_lo
	v_cmp_nlt_f32_e32 vcc_lo, 0x42b17218, v5
	s_delay_alu instid0(VALU_DEP_4)
	v_fma_f32 v41, 0x3fb8aa3b, v5, -v25
	v_rndne_f32_e32 v42, v25
	v_mul_f32_e32 v40, 0x3fb8aa3b, v23
	v_exp_f32_e32 v36, v36
	v_cmp_ngt_f32_e64 s0, 0xc2ce8ed0, v13
	v_fmac_f32_e32 v41, 0x32a5705f, v5
	v_sub_f32_e32 v25, v25, v42
	v_cvt_i32_f32_e32 v42, v42
	v_fma_f32 v55, 0x3fb8aa3b, v23, -v40
	v_rndne_f32_e32 v56, v40
	v_ldexp_f32 v38, v38, v52
	v_add_f32_e32 v25, v25, v41
	v_cmp_ngt_f32_e64 s5, 0xc2ce8ed0, v23
	v_ldexp_f32 v36, v36, v48
	v_dual_fmac_f32 v55, 0x32a5705f, v23 :: v_dual_sub_f32 v40, v40, v56
	s_delay_alu instid0(VALU_DEP_4) | instskip(SKIP_1) | instid1(VALU_DEP_3)
	v_exp_f32_e32 v25, v25
	v_cvt_i32_f32_e32 v56, v56
	v_cndmask_b32_e64 v36, 0, v36, s1
	v_cndmask_b32_e64 v38, 0, v38, s3
	v_add_f32_e32 v40, v40, v55
	v_cmp_ngt_f32_e64 s4, 0xc2ce8ed0, v21
	s_delay_alu instid0(VALU_DEP_2) | instskip(NEXT) | instid1(TRANS32_DEP_2)
	v_exp_f32_e32 v40, v40
	v_ldexp_f32 v25, v25, v42
	s_delay_alu instid0(VALU_DEP_1) | instskip(SKIP_4) | instid1(VALU_DEP_3)
	v_cndmask_b32_e64 v25, 0, v25, s6
	s_waitcnt_depctr 0xfff
	v_ldexp_f32 v40, v40, v56
	v_cndmask_b32_e32 v5, 0x7f800000, v25, vcc_lo
	v_cmp_nlt_f32_e32 vcc_lo, 0x42b17218, v11
	v_cndmask_b32_e64 v40, 0, v40, s5
	s_delay_alu instid0(VALU_DEP_3) | instskip(SKIP_2) | instid1(VALU_DEP_3)
	v_dual_fmac_f32 v10, v5, v12 :: v_dual_cndmask_b32 v11, 0x7f800000, v34
	v_mul_f32_e32 v35, 0x3fb8aa3b, v13
	v_cmp_nlt_f32_e32 vcc_lo, 0x42b17218, v13
	v_fmac_f32_e32 v10, v11, v14
	s_delay_alu instid0(VALU_DEP_3) | instskip(SKIP_1) | instid1(VALU_DEP_2)
	v_fma_f32 v45, 0x3fb8aa3b, v13, -v35
	v_rndne_f32_e32 v46, v35
	v_fmac_f32_e32 v45, 0x32a5705f, v13
	s_delay_alu instid0(VALU_DEP_2) | instskip(SKIP_1) | instid1(VALU_DEP_2)
	v_sub_f32_e32 v35, v35, v46
	v_cvt_i32_f32_e32 v46, v46
	v_add_f32_e32 v35, v35, v45
	s_delay_alu instid0(VALU_DEP_1) | instskip(SKIP_2) | instid1(VALU_DEP_1)
	v_exp_f32_e32 v35, v35
	s_waitcnt_depctr 0xfff
	v_ldexp_f32 v35, v35, v46
	v_cndmask_b32_e64 v35, 0, v35, s0
	v_cmp_nlt_f32_e64 s0, 0x42b17218, v23
	s_waitcnt vmcnt(5)
	v_fmac_f32_e32 v9, v29, v5
	s_delay_alu instid0(VALU_DEP_3) | instskip(SKIP_2) | instid1(VALU_DEP_3)
	v_cndmask_b32_e32 v5, 0x7f800000, v35, vcc_lo
	v_mul_f32_e32 v37, 0x3fb8aa3b, v17
	v_cmp_nlt_f32_e32 vcc_lo, 0x42b17218, v15
	v_dual_fmac_f32 v9, v27, v11 :: v_dual_fmac_f32 v10, v5, v16
	s_delay_alu instid0(VALU_DEP_3)
	v_fma_f32 v49, 0x3fb8aa3b, v17, -v37
	v_rndne_f32_e32 v50, v37
	v_cndmask_b32_e32 v11, 0x7f800000, v36, vcc_lo
	v_mul_f32_e32 v39, 0x3fb8aa3b, v21
	v_fmac_f32_e32 v9, v28, v5
	v_fmac_f32_e32 v49, 0x32a5705f, v17
	v_sub_f32_e32 v37, v37, v50
	v_fmac_f32_e32 v10, v11, v18
	v_fma_f32 v53, 0x3fb8aa3b, v21, -v39
	v_rndne_f32_e32 v54, v39
	v_cvt_i32_f32_e32 v50, v50
	v_add_f32_e32 v37, v37, v49
	v_cmp_nlt_f32_e32 vcc_lo, 0x42b17218, v17
	v_fmac_f32_e32 v53, 0x32a5705f, v21
	v_sub_f32_e32 v39, v39, v54
	v_cvt_i32_f32_e32 v54, v54
	v_exp_f32_e32 v37, v37
	s_waitcnt vmcnt(3)
	v_fmac_f32_e32 v9, v30, v11
	v_add_f32_e32 v39, v39, v53
	s_delay_alu instid0(VALU_DEP_1) | instskip(SKIP_2) | instid1(VALU_DEP_1)
	v_exp_f32_e32 v39, v39
	s_waitcnt_depctr 0xfff
	v_ldexp_f32 v37, v37, v50
	v_cndmask_b32_e64 v37, 0, v37, s2
	v_ldexp_f32 v39, v39, v54
	s_delay_alu instid0(VALU_DEP_2) | instskip(SKIP_1) | instid1(VALU_DEP_3)
	v_cndmask_b32_e32 v5, 0x7f800000, v37, vcc_lo
	v_cmp_nlt_f32_e32 vcc_lo, 0x42b17218, v19
	v_cndmask_b32_e64 v39, 0, v39, s4
	s_delay_alu instid0(VALU_DEP_3) | instskip(SKIP_3) | instid1(VALU_DEP_2)
	v_dual_fmac_f32 v10, v5, v20 :: v_dual_cndmask_b32 v11, 0x7f800000, v38
	v_fmac_f32_e32 v9, v31, v5
	v_cmp_nlt_f32_e32 vcc_lo, 0x42b17218, v21
	s_waitcnt vmcnt(2)
	v_dual_fmac_f32 v10, v11, v22 :: v_dual_fmac_f32 v9, v32, v11
	v_cndmask_b32_e32 v5, 0x7f800000, v39, vcc_lo
	v_cndmask_b32_e64 v11, 0x7f800000, v40, s0
	v_add_co_u32 v1, vcc_lo, 0xa00, v1
	v_add_co_ci_u32_e32 v2, vcc_lo, 0, v2, vcc_lo
	s_delay_alu instid0(VALU_DEP_4) | instskip(SKIP_1) | instid1(VALU_DEP_1)
	v_fmac_f32_e32 v10, v5, v24
	s_waitcnt vmcnt(1)
	v_dual_fmac_f32 v9, v33, v5 :: v_dual_fmac_f32 v10, v11, v26
	s_waitcnt vmcnt(0)
	s_delay_alu instid0(VALU_DEP_1)
	v_fmac_f32_e32 v9, v4, v11
	s_cbranch_scc0 .LBB13_14
; %bb.15:
	s_and_b32 s1, s12, 7
	s_delay_alu instid0(SALU_CYCLE_1)
	s_cmp_eq_u32 s1, 0
	s_cbranch_scc0 .LBB13_18
	s_branch .LBB13_20
.LBB13_16:
	v_mov_b32_e32 v0, 0x7fc00000
	s_branch .LBB13_21
.LBB13_17:
	v_mov_b32_e32 v10, 0
	s_mov_b32 s13, 0
	s_and_b32 s1, s12, 7
	s_delay_alu instid0(SALU_CYCLE_1)
	s_cmp_eq_u32 s1, 0
	s_cbranch_scc1 .LBB13_20
.LBB13_18:
	v_mad_u64_u32 v[1:2], null, 0x50, s13, v[0:1]
	v_mov_b32_e32 v2, 0
	s_lshl_b64 s[2:3], s[10:11], 2
	s_delay_alu instid0(SALU_CYCLE_1) | instskip(SKIP_1) | instid1(VALU_DEP_1)
	s_add_u32 s0, s8, s2
	s_addc_u32 s2, s9, s3
	v_lshlrev_b64 v[0:1], 2, v[1:2]
	s_delay_alu instid0(VALU_DEP_1) | instskip(NEXT) | instid1(VALU_DEP_2)
	v_add_co_u32 v0, vcc_lo, s0, v0
	v_add_co_ci_u32_e32 v1, vcc_lo, s2, v1, vcc_lo
	s_lshl_b32 s0, s13, 3
	s_delay_alu instid0(SALU_CYCLE_1)
	s_add_i32 s2, s0, 0
	s_set_inst_prefetch_distance 0x1
	.p2align	6
.LBB13_19:                              ; =>This Inner Loop Header: Depth=1
	global_load_b32 v4, v[0:1], off
	v_mov_b32_e32 v2, s2
	s_add_i32 s1, s1, -1
	s_add_i32 s2, s2, 8
	s_cmp_lg_u32 s1, 0
	ds_load_b64 v[2:3], v2
	s_waitcnt lgkmcnt(0)
	v_sub_f32_e32 v2, v2, v8
	s_delay_alu instid0(VALU_DEP_1) | instskip(NEXT) | instid1(VALU_DEP_1)
	v_mul_f32_e32 v5, 0x3fb8aa3b, v2
	v_fma_f32 v6, 0x3fb8aa3b, v2, -v5
	v_rndne_f32_e32 v11, v5
	s_delay_alu instid0(VALU_DEP_1) | instskip(NEXT) | instid1(VALU_DEP_1)
	v_dual_fmac_f32 v6, 0x32a5705f, v2 :: v_dual_sub_f32 v5, v5, v11
	v_add_f32_e32 v5, v5, v6
	v_cvt_i32_f32_e32 v6, v11
	v_cmp_ngt_f32_e32 vcc_lo, 0xc2ce8ed0, v2
	v_cmp_nlt_f32_e64 s0, 0x42b17218, v2
	s_delay_alu instid0(VALU_DEP_4) | instskip(SKIP_2) | instid1(VALU_DEP_1)
	v_exp_f32_e32 v5, v5
	s_waitcnt_depctr 0xfff
	v_ldexp_f32 v5, v5, v6
	v_cndmask_b32_e32 v5, 0, v5, vcc_lo
	v_add_co_u32 v0, vcc_lo, 0x140, v0
	v_add_co_ci_u32_e32 v1, vcc_lo, 0, v1, vcc_lo
	s_delay_alu instid0(VALU_DEP_3) | instskip(SKIP_1) | instid1(VALU_DEP_1)
	v_cndmask_b32_e64 v2, 0x7f800000, v5, s0
	s_waitcnt vmcnt(0)
	v_dual_fmac_f32 v10, v2, v3 :: v_dual_fmac_f32 v9, v4, v2
	s_cbranch_scc1 .LBB13_19
.LBB13_20:
	s_set_inst_prefetch_distance 0x2
	s_delay_alu instid0(VALU_DEP_1) | instskip(NEXT) | instid1(VALU_DEP_1)
	v_div_scale_f32 v0, null, v10, v10, v9
	v_rcp_f32_e32 v1, v0
	s_waitcnt_depctr 0xfff
	v_fma_f32 v2, -v0, v1, 1.0
	s_delay_alu instid0(VALU_DEP_1) | instskip(SKIP_1) | instid1(VALU_DEP_1)
	v_fmac_f32_e32 v1, v2, v1
	v_div_scale_f32 v2, vcc_lo, v9, v10, v9
	v_mul_f32_e32 v3, v2, v1
	s_delay_alu instid0(VALU_DEP_1) | instskip(NEXT) | instid1(VALU_DEP_1)
	v_fma_f32 v4, -v0, v3, v2
	v_fmac_f32_e32 v3, v4, v1
	s_delay_alu instid0(VALU_DEP_1) | instskip(NEXT) | instid1(VALU_DEP_1)
	v_fma_f32 v0, -v0, v3, v2
	v_div_fmas_f32 v0, v0, v1, v3
	s_delay_alu instid0(VALU_DEP_1)
	v_div_fixup_f32 v0, v0, v10, v9
.LBB13_21:
	s_mul_i32 s0, s7, 0x50
	s_delay_alu instid0(SALU_CYCLE_1) | instskip(NEXT) | instid1(SALU_CYCLE_1)
	s_ashr_i32 s1, s0, 31
	s_lshl_b64 s[0:1], s[0:1], 2
	s_delay_alu instid0(SALU_CYCLE_1)
	s_add_u32 s0, s16, s0
	s_addc_u32 s1, s17, s1
	global_store_b32 v7, v0, s[0:1]
	s_nop 0
	s_sendmsg sendmsg(MSG_DEALLOC_VGPRS)
	s_endpgm
	.section	.rodata,"a",@progbits
	.p2align	6, 0x0
	.amdhsa_kernel _ZL26flash_attn_combine_resultsILi80EEvPKfPK15HIP_vector_typeIfLj2EEPfi
		.amdhsa_group_segment_fixed_size 0
		.amdhsa_private_segment_fixed_size 0
		.amdhsa_kernarg_size 288
		.amdhsa_user_sgpr_count 13
		.amdhsa_user_sgpr_dispatch_ptr 0
		.amdhsa_user_sgpr_queue_ptr 0
		.amdhsa_user_sgpr_kernarg_segment_ptr 1
		.amdhsa_user_sgpr_dispatch_id 0
		.amdhsa_user_sgpr_private_segment_size 0
		.amdhsa_wavefront_size32 1
		.amdhsa_uses_dynamic_stack 0
		.amdhsa_enable_private_segment 0
		.amdhsa_system_sgpr_workgroup_id_x 1
		.amdhsa_system_sgpr_workgroup_id_y 1
		.amdhsa_system_sgpr_workgroup_id_z 1
		.amdhsa_system_sgpr_workgroup_info 0
		.amdhsa_system_vgpr_workitem_id 0
		.amdhsa_next_free_vgpr 57
		.amdhsa_next_free_sgpr 20
		.amdhsa_reserve_vcc 1
		.amdhsa_float_round_mode_32 0
		.amdhsa_float_round_mode_16_64 0
		.amdhsa_float_denorm_mode_32 3
		.amdhsa_float_denorm_mode_16_64 3
		.amdhsa_dx10_clamp 1
		.amdhsa_ieee_mode 1
		.amdhsa_fp16_overflow 0
		.amdhsa_workgroup_processor_mode 1
		.amdhsa_memory_ordered 1
		.amdhsa_forward_progress 0
		.amdhsa_shared_vgpr_count 0
		.amdhsa_exception_fp_ieee_invalid_op 0
		.amdhsa_exception_fp_denorm_src 0
		.amdhsa_exception_fp_ieee_div_zero 0
		.amdhsa_exception_fp_ieee_overflow 0
		.amdhsa_exception_fp_ieee_underflow 0
		.amdhsa_exception_fp_ieee_inexact 0
		.amdhsa_exception_int_div_zero 0
	.end_amdhsa_kernel
	.section	.text._ZL26flash_attn_combine_resultsILi80EEvPKfPK15HIP_vector_typeIfLj2EEPfi,"axG",@progbits,_ZL26flash_attn_combine_resultsILi80EEvPKfPK15HIP_vector_typeIfLj2EEPfi,comdat
.Lfunc_end13:
	.size	_ZL26flash_attn_combine_resultsILi80EEvPKfPK15HIP_vector_typeIfLj2EEPfi, .Lfunc_end13-_ZL26flash_attn_combine_resultsILi80EEvPKfPK15HIP_vector_typeIfLj2EEPfi
                                        ; -- End function
	.section	.AMDGPU.csdata,"",@progbits
; Kernel info:
; codeLenInByte = 2380
; NumSgprs: 22
; NumVgprs: 57
; ScratchSize: 0
; MemoryBound: 0
; FloatMode: 240
; IeeeMode: 1
; LDSByteSize: 0 bytes/workgroup (compile time only)
; SGPRBlocks: 2
; VGPRBlocks: 7
; NumSGPRsForWavesPerEU: 22
; NumVGPRsForWavesPerEU: 57
; Occupancy: 16
; WaveLimiterHint : 1
; COMPUTE_PGM_RSRC2:SCRATCH_EN: 0
; COMPUTE_PGM_RSRC2:USER_SGPR: 13
; COMPUTE_PGM_RSRC2:TRAP_HANDLER: 0
; COMPUTE_PGM_RSRC2:TGID_X_EN: 1
; COMPUTE_PGM_RSRC2:TGID_Y_EN: 1
; COMPUTE_PGM_RSRC2:TGID_Z_EN: 1
; COMPUTE_PGM_RSRC2:TIDIG_COMP_CNT: 0
	.section	.text._ZL18flash_attn_ext_f16ILi96ELi96ELi64ELi1ELb0ELb0EEvPKcS1_S1_S1_S1_PKiPfP15HIP_vector_typeIfLj2EEffffjfiS5_IjLj3EEiiiiiiiiiiiliiliiiiil,"axG",@progbits,_ZL18flash_attn_ext_f16ILi96ELi96ELi64ELi1ELb0ELb0EEvPKcS1_S1_S1_S1_PKiPfP15HIP_vector_typeIfLj2EEffffjfiS5_IjLj3EEiiiiiiiiiiiliiliiiiil,comdat
	.globl	_ZL18flash_attn_ext_f16ILi96ELi96ELi64ELi1ELb0ELb0EEvPKcS1_S1_S1_S1_PKiPfP15HIP_vector_typeIfLj2EEffffjfiS5_IjLj3EEiiiiiiiiiiiliiliiiiil ; -- Begin function _ZL18flash_attn_ext_f16ILi96ELi96ELi64ELi1ELb0ELb0EEvPKcS1_S1_S1_S1_PKiPfP15HIP_vector_typeIfLj2EEffffjfiS5_IjLj3EEiiiiiiiiiiiliiliiiiil
	.p2align	8
	.type	_ZL18flash_attn_ext_f16ILi96ELi96ELi64ELi1ELb0ELb0EEvPKcS1_S1_S1_S1_PKiPfP15HIP_vector_typeIfLj2EEffffjfiS5_IjLj3EEiiiiiiiiiiiliiliiiiil,@function
_ZL18flash_attn_ext_f16ILi96ELi96ELi64ELi1ELb0ELb0EEvPKcS1_S1_S1_S1_PKiPfP15HIP_vector_typeIfLj2EEffffjfiS5_IjLj3EEiiiiiiiiiiiliiliiiiil: ; @_ZL18flash_attn_ext_f16ILi96ELi96ELi64ELi1ELb0ELb0EEvPKcS1_S1_S1_S1_PKiPfP15HIP_vector_typeIfLj2EEffffjfiS5_IjLj3EEiiiiiiiiiiiliiliiiiil
; %bb.0:
	v_mov_b32_e32 v0, 0x6e3
	s_add_u32 s8, s0, 0xd0
	s_addc_u32 s9, s1, 0
	s_mov_b32 s32, 0
	s_getpc_b64 s[0:1]
	s_add_u32 s0, s0, _ZL14no_device_codePKciS0_iS0_@rel32@lo+4
	s_addc_u32 s1, s1, _ZL14no_device_codePKciS0_iS0_@rel32@hi+12
	s_delay_alu instid0(SALU_CYCLE_1)
	s_swappc_b64 s[30:31], s[0:1]
	.section	.rodata,"a",@progbits
	.p2align	6, 0x0
	.amdhsa_kernel _ZL18flash_attn_ext_f16ILi96ELi96ELi64ELi1ELb0ELb0EEvPKcS1_S1_S1_S1_PKiPfP15HIP_vector_typeIfLj2EEffffjfiS5_IjLj3EEiiiiiiiiiiiliiliiiiil
		.amdhsa_group_segment_fixed_size 0
		.amdhsa_private_segment_fixed_size 16
		.amdhsa_kernarg_size 464
		.amdhsa_user_sgpr_count 15
		.amdhsa_user_sgpr_dispatch_ptr 0
		.amdhsa_user_sgpr_queue_ptr 0
		.amdhsa_user_sgpr_kernarg_segment_ptr 1
		.amdhsa_user_sgpr_dispatch_id 0
		.amdhsa_user_sgpr_private_segment_size 0
		.amdhsa_wavefront_size32 1
		.amdhsa_uses_dynamic_stack 0
		.amdhsa_enable_private_segment 1
		.amdhsa_system_sgpr_workgroup_id_x 1
		.amdhsa_system_sgpr_workgroup_id_y 0
		.amdhsa_system_sgpr_workgroup_id_z 0
		.amdhsa_system_sgpr_workgroup_info 0
		.amdhsa_system_vgpr_workitem_id 0
		.amdhsa_next_free_vgpr 37
		.amdhsa_next_free_sgpr 34
		.amdhsa_reserve_vcc 1
		.amdhsa_float_round_mode_32 0
		.amdhsa_float_round_mode_16_64 0
		.amdhsa_float_denorm_mode_32 3
		.amdhsa_float_denorm_mode_16_64 3
		.amdhsa_dx10_clamp 1
		.amdhsa_ieee_mode 1
		.amdhsa_fp16_overflow 0
		.amdhsa_workgroup_processor_mode 1
		.amdhsa_memory_ordered 1
		.amdhsa_forward_progress 0
		.amdhsa_shared_vgpr_count 0
		.amdhsa_exception_fp_ieee_invalid_op 0
		.amdhsa_exception_fp_denorm_src 0
		.amdhsa_exception_fp_ieee_div_zero 0
		.amdhsa_exception_fp_ieee_overflow 0
		.amdhsa_exception_fp_ieee_underflow 0
		.amdhsa_exception_fp_ieee_inexact 0
		.amdhsa_exception_int_div_zero 0
	.end_amdhsa_kernel
	.section	.text._ZL18flash_attn_ext_f16ILi96ELi96ELi64ELi1ELb0ELb0EEvPKcS1_S1_S1_S1_PKiPfP15HIP_vector_typeIfLj2EEffffjfiS5_IjLj3EEiiiiiiiiiiiliiliiiiil,"axG",@progbits,_ZL18flash_attn_ext_f16ILi96ELi96ELi64ELi1ELb0ELb0EEvPKcS1_S1_S1_S1_PKiPfP15HIP_vector_typeIfLj2EEffffjfiS5_IjLj3EEiiiiiiiiiiiliiliiiiil,comdat
.Lfunc_end14:
	.size	_ZL18flash_attn_ext_f16ILi96ELi96ELi64ELi1ELb0ELb0EEvPKcS1_S1_S1_S1_PKiPfP15HIP_vector_typeIfLj2EEffffjfiS5_IjLj3EEiiiiiiiiiiiliiliiiiil, .Lfunc_end14-_ZL18flash_attn_ext_f16ILi96ELi96ELi64ELi1ELb0ELb0EEvPKcS1_S1_S1_S1_PKiPfP15HIP_vector_typeIfLj2EEffffjfiS5_IjLj3EEiiiiiiiiiiiliiliiiiil
                                        ; -- End function
	.section	.AMDGPU.csdata,"",@progbits
; Kernel info:
; codeLenInByte = 52
; NumSgprs: 36
; NumVgprs: 37
; ScratchSize: 16
; MemoryBound: 0
; FloatMode: 240
; IeeeMode: 1
; LDSByteSize: 0 bytes/workgroup (compile time only)
; SGPRBlocks: 4
; VGPRBlocks: 4
; NumSGPRsForWavesPerEU: 36
; NumVGPRsForWavesPerEU: 37
; Occupancy: 16
; WaveLimiterHint : 1
; COMPUTE_PGM_RSRC2:SCRATCH_EN: 1
; COMPUTE_PGM_RSRC2:USER_SGPR: 15
; COMPUTE_PGM_RSRC2:TRAP_HANDLER: 0
; COMPUTE_PGM_RSRC2:TGID_X_EN: 1
; COMPUTE_PGM_RSRC2:TGID_Y_EN: 0
; COMPUTE_PGM_RSRC2:TGID_Z_EN: 0
; COMPUTE_PGM_RSRC2:TIDIG_COMP_CNT: 0
	.section	.text._ZL18flash_attn_ext_f16ILi96ELi96ELi64ELi1ELb1ELb0EEvPKcS1_S1_S1_S1_PKiPfP15HIP_vector_typeIfLj2EEffffjfiS5_IjLj3EEiiiiiiiiiiiliiliiiiil,"axG",@progbits,_ZL18flash_attn_ext_f16ILi96ELi96ELi64ELi1ELb1ELb0EEvPKcS1_S1_S1_S1_PKiPfP15HIP_vector_typeIfLj2EEffffjfiS5_IjLj3EEiiiiiiiiiiiliiliiiiil,comdat
	.globl	_ZL18flash_attn_ext_f16ILi96ELi96ELi64ELi1ELb1ELb0EEvPKcS1_S1_S1_S1_PKiPfP15HIP_vector_typeIfLj2EEffffjfiS5_IjLj3EEiiiiiiiiiiiliiliiiiil ; -- Begin function _ZL18flash_attn_ext_f16ILi96ELi96ELi64ELi1ELb1ELb0EEvPKcS1_S1_S1_S1_PKiPfP15HIP_vector_typeIfLj2EEffffjfiS5_IjLj3EEiiiiiiiiiiiliiliiiiil
	.p2align	8
	.type	_ZL18flash_attn_ext_f16ILi96ELi96ELi64ELi1ELb1ELb0EEvPKcS1_S1_S1_S1_PKiPfP15HIP_vector_typeIfLj2EEffffjfiS5_IjLj3EEiiiiiiiiiiiliiliiiiil,@function
_ZL18flash_attn_ext_f16ILi96ELi96ELi64ELi1ELb1ELb0EEvPKcS1_S1_S1_S1_PKiPfP15HIP_vector_typeIfLj2EEffffjfiS5_IjLj3EEiiiiiiiiiiiliiliiiiil: ; @_ZL18flash_attn_ext_f16ILi96ELi96ELi64ELi1ELb1ELb0EEvPKcS1_S1_S1_S1_PKiPfP15HIP_vector_typeIfLj2EEffffjfiS5_IjLj3EEiiiiiiiiiiiliiliiiiil
; %bb.0:
	v_mov_b32_e32 v0, 0x6cc
	s_add_u32 s8, s0, 0xd0
	s_addc_u32 s9, s1, 0
	s_mov_b32 s32, 0
	s_getpc_b64 s[0:1]
	s_add_u32 s0, s0, _ZL14no_device_codePKciS0_iS0_@rel32@lo+4
	s_addc_u32 s1, s1, _ZL14no_device_codePKciS0_iS0_@rel32@hi+12
	s_delay_alu instid0(SALU_CYCLE_1)
	s_swappc_b64 s[30:31], s[0:1]
	.section	.rodata,"a",@progbits
	.p2align	6, 0x0
	.amdhsa_kernel _ZL18flash_attn_ext_f16ILi96ELi96ELi64ELi1ELb1ELb0EEvPKcS1_S1_S1_S1_PKiPfP15HIP_vector_typeIfLj2EEffffjfiS5_IjLj3EEiiiiiiiiiiiliiliiiiil
		.amdhsa_group_segment_fixed_size 0
		.amdhsa_private_segment_fixed_size 16
		.amdhsa_kernarg_size 464
		.amdhsa_user_sgpr_count 15
		.amdhsa_user_sgpr_dispatch_ptr 0
		.amdhsa_user_sgpr_queue_ptr 0
		.amdhsa_user_sgpr_kernarg_segment_ptr 1
		.amdhsa_user_sgpr_dispatch_id 0
		.amdhsa_user_sgpr_private_segment_size 0
		.amdhsa_wavefront_size32 1
		.amdhsa_uses_dynamic_stack 0
		.amdhsa_enable_private_segment 1
		.amdhsa_system_sgpr_workgroup_id_x 1
		.amdhsa_system_sgpr_workgroup_id_y 0
		.amdhsa_system_sgpr_workgroup_id_z 0
		.amdhsa_system_sgpr_workgroup_info 0
		.amdhsa_system_vgpr_workitem_id 0
		.amdhsa_next_free_vgpr 37
		.amdhsa_next_free_sgpr 34
		.amdhsa_reserve_vcc 1
		.amdhsa_float_round_mode_32 0
		.amdhsa_float_round_mode_16_64 0
		.amdhsa_float_denorm_mode_32 3
		.amdhsa_float_denorm_mode_16_64 3
		.amdhsa_dx10_clamp 1
		.amdhsa_ieee_mode 1
		.amdhsa_fp16_overflow 0
		.amdhsa_workgroup_processor_mode 1
		.amdhsa_memory_ordered 1
		.amdhsa_forward_progress 0
		.amdhsa_shared_vgpr_count 0
		.amdhsa_exception_fp_ieee_invalid_op 0
		.amdhsa_exception_fp_denorm_src 0
		.amdhsa_exception_fp_ieee_div_zero 0
		.amdhsa_exception_fp_ieee_overflow 0
		.amdhsa_exception_fp_ieee_underflow 0
		.amdhsa_exception_fp_ieee_inexact 0
		.amdhsa_exception_int_div_zero 0
	.end_amdhsa_kernel
	.section	.text._ZL18flash_attn_ext_f16ILi96ELi96ELi64ELi1ELb1ELb0EEvPKcS1_S1_S1_S1_PKiPfP15HIP_vector_typeIfLj2EEffffjfiS5_IjLj3EEiiiiiiiiiiiliiliiiiil,"axG",@progbits,_ZL18flash_attn_ext_f16ILi96ELi96ELi64ELi1ELb1ELb0EEvPKcS1_S1_S1_S1_PKiPfP15HIP_vector_typeIfLj2EEffffjfiS5_IjLj3EEiiiiiiiiiiiliiliiiiil,comdat
.Lfunc_end15:
	.size	_ZL18flash_attn_ext_f16ILi96ELi96ELi64ELi1ELb1ELb0EEvPKcS1_S1_S1_S1_PKiPfP15HIP_vector_typeIfLj2EEffffjfiS5_IjLj3EEiiiiiiiiiiiliiliiiiil, .Lfunc_end15-_ZL18flash_attn_ext_f16ILi96ELi96ELi64ELi1ELb1ELb0EEvPKcS1_S1_S1_S1_PKiPfP15HIP_vector_typeIfLj2EEffffjfiS5_IjLj3EEiiiiiiiiiiiliiliiiiil
                                        ; -- End function
	.section	.AMDGPU.csdata,"",@progbits
; Kernel info:
; codeLenInByte = 52
; NumSgprs: 36
; NumVgprs: 37
; ScratchSize: 16
; MemoryBound: 0
; FloatMode: 240
; IeeeMode: 1
; LDSByteSize: 0 bytes/workgroup (compile time only)
; SGPRBlocks: 4
; VGPRBlocks: 4
; NumSGPRsForWavesPerEU: 36
; NumVGPRsForWavesPerEU: 37
; Occupancy: 16
; WaveLimiterHint : 1
; COMPUTE_PGM_RSRC2:SCRATCH_EN: 1
; COMPUTE_PGM_RSRC2:USER_SGPR: 15
; COMPUTE_PGM_RSRC2:TRAP_HANDLER: 0
; COMPUTE_PGM_RSRC2:TGID_X_EN: 1
; COMPUTE_PGM_RSRC2:TGID_Y_EN: 0
; COMPUTE_PGM_RSRC2:TGID_Z_EN: 0
; COMPUTE_PGM_RSRC2:TIDIG_COMP_CNT: 0
	.section	.text._ZL33flash_attn_stream_k_fixup_uniformILi96ELi64ELi1EEvPfPK15HIP_vector_typeIfLj2EEiiiiiiS1_IjLj3EES5_S5_,"axG",@progbits,_ZL33flash_attn_stream_k_fixup_uniformILi96ELi64ELi1EEvPfPK15HIP_vector_typeIfLj2EEiiiiiiS1_IjLj3EES5_S5_,comdat
	.globl	_ZL33flash_attn_stream_k_fixup_uniformILi96ELi64ELi1EEvPfPK15HIP_vector_typeIfLj2EEiiiiiiS1_IjLj3EES5_S5_ ; -- Begin function _ZL33flash_attn_stream_k_fixup_uniformILi96ELi64ELi1EEvPfPK15HIP_vector_typeIfLj2EEiiiiiiS1_IjLj3EES5_S5_
	.p2align	8
	.type	_ZL33flash_attn_stream_k_fixup_uniformILi96ELi64ELi1EEvPfPK15HIP_vector_typeIfLj2EEiiiiiiS1_IjLj3EES5_S5_,@function
_ZL33flash_attn_stream_k_fixup_uniformILi96ELi64ELi1EEvPfPK15HIP_vector_typeIfLj2EEiiiiiiS1_IjLj3EES5_S5_: ; @_ZL33flash_attn_stream_k_fixup_uniformILi96ELi64ELi1EEvPfPK15HIP_vector_typeIfLj2EEiiiiiiS1_IjLj3EES5_S5_
; %bb.0:
	s_clause 0x1
	s_load_b256 s[4:11], s[0:1], 0x1c
	s_load_b128 s[16:19], s[0:1], 0x3c
	s_waitcnt lgkmcnt(0)
	s_mul_hi_u32 s2, s7, s13
	s_delay_alu instid0(SALU_CYCLE_1) | instskip(NEXT) | instid1(SALU_CYCLE_1)
	s_add_i32 s2, s13, s2
	s_lshr_b32 s7, s2, s8
	s_delay_alu instid0(SALU_CYCLE_1) | instskip(NEXT) | instid1(SALU_CYCLE_1)
	s_mul_i32 s2, s7, s9
	s_sub_i32 s9, s13, s2
	s_delay_alu instid0(SALU_CYCLE_1) | instskip(NEXT) | instid1(SALU_CYCLE_1)
	s_mul_hi_u32 s2, s9, s10
	s_add_i32 s8, s9, s2
	s_load_b64 s[2:3], s[0:1], 0x10
	s_lshr_b32 s8, s8, s11
	s_delay_alu instid0(SALU_CYCLE_1) | instskip(NEXT) | instid1(SALU_CYCLE_1)
	s_mul_i32 s10, s8, s16
	s_sub_i32 s9, s9, s10
	s_delay_alu instid0(SALU_CYCLE_1) | instskip(NEXT) | instid1(SALU_CYCLE_1)
	s_mul_hi_u32 s10, s9, s17
	s_add_i32 s10, s9, s10
	s_delay_alu instid0(SALU_CYCLE_1) | instskip(NEXT) | instid1(SALU_CYCLE_1)
	s_lshr_b32 s11, s10, s18
	s_mul_i32 s10, s11, s19
	s_delay_alu instid0(SALU_CYCLE_1) | instskip(NEXT) | instid1(SALU_CYCLE_1)
	s_sub_i32 s10, s9, s10
	s_lshl_b32 s9, s10, 6
	s_delay_alu instid0(SALU_CYCLE_1) | instskip(SKIP_4) | instid1(SALU_CYCLE_1)
	s_add_i32 s9, s9, s14
	s_waitcnt lgkmcnt(0)
	s_cmp_lt_i32 s9, s2
	s_cselect_b32 s12, -1, 0
	s_add_i32 s9, s11, s15
	s_cmp_lt_i32 s9, s5
	s_cselect_b32 s11, -1, 0
	s_delay_alu instid0(SALU_CYCLE_1) | instskip(NEXT) | instid1(SALU_CYCLE_1)
	s_and_b32 s11, s12, s11
	s_and_not1_b32 vcc_lo, exec_lo, s11
	s_cbranch_vccnz .LBB16_6
; %bb.1:
	s_mul_i32 s8, s8, s5
	s_mul_i32 s5, s3, s10
	;; [unrolled: 1-line block ×3, first 2 shown]
	s_mulk_i32 s5, 0x1800
	s_add_i32 s2, s2, s14
	v_or_b32_e32 v1, s5, v0
	s_mul_i32 s7, s2, s3
	s_add_i32 s5, s9, s8
	s_load_b128 s[0:3], s[0:1], 0x0
	s_add_i32 s5, s5, s7
	s_add_i32 s10, s14, s15
	v_mad_u64_u32 v[2:3], null, 0x60, s5, v[1:2]
	s_mul_i32 s5, s13, s6
	s_delay_alu instid0(SALU_CYCLE_1) | instskip(NEXT) | instid1(VALU_DEP_1)
	s_add_i32 s9, s5, s6
	v_ashrrev_i32_e32 v3, 31, v2
	s_delay_alu instid0(VALU_DEP_1) | instskip(SKIP_1) | instid1(VALU_DEP_1)
	v_lshlrev_b64 v[1:2], 2, v[2:3]
	s_waitcnt lgkmcnt(0)
	v_add_co_u32 v1, vcc_lo, s0, v1
	s_delay_alu instid0(VALU_DEP_2) | instskip(SKIP_1) | instid1(SALU_CYCLE_1)
	v_add_co_ci_u32_e32 v2, vcc_lo, s1, v2, vcc_lo
	s_lshl_b32 s0, s9, 6
	s_add_i32 s0, s10, s0
	global_load_b32 v5, v[1:2], off
	s_sub_i32 s0, s0, 64
	s_delay_alu instid0(SALU_CYCLE_1) | instskip(NEXT) | instid1(SALU_CYCLE_1)
	s_ashr_i32 s1, s0, 31
	s_lshl_b64 s[0:1], s[0:1], 3
	s_delay_alu instid0(SALU_CYCLE_1)
	s_add_u32 s0, s2, s0
	s_addc_u32 s1, s3, s1
	s_add_i32 s7, s9, -2
	s_load_b32 s11, s[0:1], 0x4
	s_cmp_lt_i32 s7, s5
	s_cbranch_scc1 .LBB16_4
; %bb.2:
	s_load_b32 s12, s[0:1], 0x0
	s_lshl_b32 s0, s4, 8
	s_waitcnt lgkmcnt(0)
	v_mov_b32_e32 v6, s11
	s_ashr_i32 s1, s0, 31
	s_delay_alu instid0(SALU_CYCLE_1) | instskip(NEXT) | instid1(SALU_CYCLE_1)
	s_lshl_b64 s[0:1], s[0:1], 2
	s_add_u32 s7, s2, s0
	s_addc_u32 s8, s3, s1
	s_add_i32 s13, s13, 1
	s_mul_i32 s1, s10, 0x60
	s_mul_i32 s0, s6, s13
	s_delay_alu instid0(SALU_CYCLE_1)
	s_lshl_b32 s6, s0, 6
	s_mulk_i32 s0, 0x1800
	s_add_i32 s6, s10, s6
	s_add_i32 s1, s1, s0
	s_lshl_b32 s0, s4, 6
	v_add3_u32 v3, s1, v0, 0xffffd000
	s_add_i32 s0, s6, s0
	v_mov_b32_e32 v0, s12
	s_add_i32 s4, s9, -1
	s_addk_i32 s0, 0xff80
.LBB16_3:                               ; =>This Inner Loop Header: Depth=1
	s_delay_alu instid0(VALU_DEP_2) | instskip(SKIP_1) | instid1(SALU_CYCLE_1)
	v_ashrrev_i32_e32 v4, 31, v3
	s_ashr_i32 s1, s0, 31
	s_lshl_b64 s[10:11], s[0:1], 3
	s_delay_alu instid0(SALU_CYCLE_1) | instskip(NEXT) | instid1(VALU_DEP_1)
	s_add_u32 s10, s2, s10
	v_lshlrev_b64 v[7:8], 2, v[3:4]
	s_addc_u32 s11, s3, s11
	s_add_i32 s4, s4, -1
	s_sub_i32 s0, s0, 64
	s_cmp_le_i32 s4, s5
	s_load_b64 s[10:11], s[10:11], 0x0
	v_add_co_u32 v7, vcc_lo, s7, v7
	v_add_co_ci_u32_e32 v8, vcc_lo, s8, v8, vcc_lo
	global_load_b32 v4, v[7:8], off
	v_max_f32_e32 v7, v0, v0
	s_waitcnt lgkmcnt(0)
	v_max_f32_e64 v8, s10, s10
	s_delay_alu instid0(VALU_DEP_1) | instskip(NEXT) | instid1(VALU_DEP_1)
	v_max_f32_e32 v7, v7, v8
	v_sub_f32_e32 v8, s10, v7
	s_delay_alu instid0(VALU_DEP_1) | instskip(NEXT) | instid1(VALU_DEP_1)
	v_dual_sub_f32 v0, v0, v7 :: v_dual_mul_f32 v9, 0x3fb8aa3b, v8
	v_fma_f32 v10, 0x3fb8aa3b, v8, -v9
	v_rndne_f32_e32 v11, v9
	s_delay_alu instid0(VALU_DEP_3) | instskip(NEXT) | instid1(VALU_DEP_2)
	v_mul_f32_e32 v12, 0x3fb8aa3b, v0
	v_dual_fmac_f32 v10, 0x32a5705f, v8 :: v_dual_sub_f32 v9, v9, v11
	v_cvt_i32_f32_e32 v11, v11
	s_delay_alu instid0(VALU_DEP_3) | instskip(SKIP_1) | instid1(VALU_DEP_4)
	v_fma_f32 v13, 0x3fb8aa3b, v0, -v12
	v_rndne_f32_e32 v14, v12
	v_add_f32_e32 v9, v9, v10
	v_cmp_ngt_f32_e32 vcc_lo, 0xc2ce8ed0, v8
	s_delay_alu instid0(VALU_DEP_3) | instskip(NEXT) | instid1(VALU_DEP_3)
	v_sub_f32_e32 v10, v12, v14
	v_exp_f32_e32 v9, v9
	s_waitcnt_depctr 0xfff
	v_ldexp_f32 v9, v9, v11
	v_cvt_i32_f32_e32 v11, v14
	s_delay_alu instid0(VALU_DEP_2) | instskip(SKIP_1) | instid1(VALU_DEP_2)
	v_cndmask_b32_e32 v9, 0, v9, vcc_lo
	v_cmp_nlt_f32_e32 vcc_lo, 0x42b17218, v8
	v_cndmask_b32_e32 v9, 0x7f800000, v9, vcc_lo
	v_cmp_ngt_f32_e32 vcc_lo, 0xc2ce8ed0, v0
	v_fmac_f32_e32 v13, 0x32a5705f, v0
	s_delay_alu instid0(VALU_DEP_1) | instskip(NEXT) | instid1(VALU_DEP_1)
	v_add_f32_e32 v10, v10, v13
	v_exp_f32_e32 v10, v10
	s_waitcnt_depctr 0xfff
	v_ldexp_f32 v10, v10, v11
	s_delay_alu instid0(VALU_DEP_1)
	v_dual_mov_b32 v11, v6 :: v_dual_cndmask_b32 v10, 0, v10
	v_cmp_le_f32_e32 vcc_lo, 0xc1a00000, v8
	s_waitcnt vmcnt(1)
	v_dual_cndmask_b32 v8, 0, v9 :: v_dual_mov_b32 v9, v5
	v_cmp_nlt_f32_e32 vcc_lo, 0x42b17218, v0
	v_cndmask_b32_e32 v5, 0x7f800000, v10, vcc_lo
	s_delay_alu instid0(VALU_DEP_3) | instskip(SKIP_2) | instid1(VALU_DEP_3)
	v_mul_f32_e32 v10, s11, v8
	v_cmp_le_f32_e32 vcc_lo, 0xc1a00000, v0
	v_mov_b32_e32 v0, v7
	v_mov_b32_e32 v6, v10
	s_waitcnt vmcnt(0)
	v_dual_cndmask_b32 v12, 0, v5 :: v_dual_mul_f32 v5, v4, v8
	s_delay_alu instid0(VALU_DEP_1) | instskip(NEXT) | instid1(VALU_DEP_2)
	v_dual_fmac_f32 v6, v11, v12 :: v_dual_add_nc_u32 v3, 0xffffe800, v3
	v_fmac_f32_e32 v5, v9, v12
	s_cbranch_scc0 .LBB16_3
	s_branch .LBB16_5
.LBB16_4:
	s_waitcnt lgkmcnt(0)
	v_mov_b32_e32 v6, s11
.LBB16_5:
	s_waitcnt vmcnt(0)
	s_delay_alu instid0(VALU_DEP_1) | instskip(NEXT) | instid1(VALU_DEP_1)
	v_div_scale_f32 v0, null, v6, v6, v5
	v_rcp_f32_e32 v3, v0
	s_waitcnt_depctr 0xfff
	v_fma_f32 v4, -v0, v3, 1.0
	s_delay_alu instid0(VALU_DEP_1) | instskip(SKIP_1) | instid1(VALU_DEP_1)
	v_fmac_f32_e32 v3, v4, v3
	v_div_scale_f32 v4, vcc_lo, v5, v6, v5
	v_mul_f32_e32 v7, v4, v3
	s_delay_alu instid0(VALU_DEP_1) | instskip(NEXT) | instid1(VALU_DEP_1)
	v_fma_f32 v8, -v0, v7, v4
	v_fmac_f32_e32 v7, v8, v3
	s_delay_alu instid0(VALU_DEP_1) | instskip(NEXT) | instid1(VALU_DEP_1)
	v_fma_f32 v0, -v0, v7, v4
	v_div_fmas_f32 v0, v0, v3, v7
	s_delay_alu instid0(VALU_DEP_1)
	v_div_fixup_f32 v0, v0, v6, v5
	global_store_b32 v[1:2], v0, off
.LBB16_6:
	s_nop 0
	s_sendmsg sendmsg(MSG_DEALLOC_VGPRS)
	s_endpgm
	.section	.rodata,"a",@progbits
	.p2align	6, 0x0
	.amdhsa_kernel _ZL33flash_attn_stream_k_fixup_uniformILi96ELi64ELi1EEvPfPK15HIP_vector_typeIfLj2EEiiiiiiS1_IjLj3EES5_S5_
		.amdhsa_group_segment_fixed_size 0
		.amdhsa_private_segment_fixed_size 0
		.amdhsa_kernarg_size 76
		.amdhsa_user_sgpr_count 13
		.amdhsa_user_sgpr_dispatch_ptr 0
		.amdhsa_user_sgpr_queue_ptr 0
		.amdhsa_user_sgpr_kernarg_segment_ptr 1
		.amdhsa_user_sgpr_dispatch_id 0
		.amdhsa_user_sgpr_private_segment_size 0
		.amdhsa_wavefront_size32 1
		.amdhsa_uses_dynamic_stack 0
		.amdhsa_enable_private_segment 0
		.amdhsa_system_sgpr_workgroup_id_x 1
		.amdhsa_system_sgpr_workgroup_id_y 1
		.amdhsa_system_sgpr_workgroup_id_z 1
		.amdhsa_system_sgpr_workgroup_info 0
		.amdhsa_system_vgpr_workitem_id 0
		.amdhsa_next_free_vgpr 15
		.amdhsa_next_free_sgpr 20
		.amdhsa_reserve_vcc 1
		.amdhsa_float_round_mode_32 0
		.amdhsa_float_round_mode_16_64 0
		.amdhsa_float_denorm_mode_32 3
		.amdhsa_float_denorm_mode_16_64 3
		.amdhsa_dx10_clamp 1
		.amdhsa_ieee_mode 1
		.amdhsa_fp16_overflow 0
		.amdhsa_workgroup_processor_mode 1
		.amdhsa_memory_ordered 1
		.amdhsa_forward_progress 0
		.amdhsa_shared_vgpr_count 0
		.amdhsa_exception_fp_ieee_invalid_op 0
		.amdhsa_exception_fp_denorm_src 0
		.amdhsa_exception_fp_ieee_div_zero 0
		.amdhsa_exception_fp_ieee_overflow 0
		.amdhsa_exception_fp_ieee_underflow 0
		.amdhsa_exception_fp_ieee_inexact 0
		.amdhsa_exception_int_div_zero 0
	.end_amdhsa_kernel
	.section	.text._ZL33flash_attn_stream_k_fixup_uniformILi96ELi64ELi1EEvPfPK15HIP_vector_typeIfLj2EEiiiiiiS1_IjLj3EES5_S5_,"axG",@progbits,_ZL33flash_attn_stream_k_fixup_uniformILi96ELi64ELi1EEvPfPK15HIP_vector_typeIfLj2EEiiiiiiS1_IjLj3EES5_S5_,comdat
.Lfunc_end16:
	.size	_ZL33flash_attn_stream_k_fixup_uniformILi96ELi64ELi1EEvPfPK15HIP_vector_typeIfLj2EEiiiiiiS1_IjLj3EES5_S5_, .Lfunc_end16-_ZL33flash_attn_stream_k_fixup_uniformILi96ELi64ELi1EEvPfPK15HIP_vector_typeIfLj2EEiiiiiiS1_IjLj3EES5_S5_
                                        ; -- End function
	.section	.AMDGPU.csdata,"",@progbits
; Kernel info:
; codeLenInByte = 980
; NumSgprs: 22
; NumVgprs: 15
; ScratchSize: 0
; MemoryBound: 0
; FloatMode: 240
; IeeeMode: 1
; LDSByteSize: 0 bytes/workgroup (compile time only)
; SGPRBlocks: 2
; VGPRBlocks: 1
; NumSGPRsForWavesPerEU: 22
; NumVGPRsForWavesPerEU: 15
; Occupancy: 16
; WaveLimiterHint : 0
; COMPUTE_PGM_RSRC2:SCRATCH_EN: 0
; COMPUTE_PGM_RSRC2:USER_SGPR: 13
; COMPUTE_PGM_RSRC2:TRAP_HANDLER: 0
; COMPUTE_PGM_RSRC2:TGID_X_EN: 1
; COMPUTE_PGM_RSRC2:TGID_Y_EN: 1
; COMPUTE_PGM_RSRC2:TGID_Z_EN: 1
; COMPUTE_PGM_RSRC2:TIDIG_COMP_CNT: 0
	.section	.text._ZL33flash_attn_stream_k_fixup_generalILi96ELi64ELi1EEvPfPK15HIP_vector_typeIfLj2EEiiiiS1_IjLj3EES5_S5_S5_,"axG",@progbits,_ZL33flash_attn_stream_k_fixup_generalILi96ELi64ELi1EEvPfPK15HIP_vector_typeIfLj2EEiiiiS1_IjLj3EES5_S5_S5_,comdat
	.globl	_ZL33flash_attn_stream_k_fixup_generalILi96ELi64ELi1EEvPfPK15HIP_vector_typeIfLj2EEiiiiS1_IjLj3EES5_S5_S5_ ; -- Begin function _ZL33flash_attn_stream_k_fixup_generalILi96ELi64ELi1EEvPfPK15HIP_vector_typeIfLj2EEiiiiS1_IjLj3EES5_S5_S5_
	.p2align	8
	.type	_ZL33flash_attn_stream_k_fixup_generalILi96ELi64ELi1EEvPfPK15HIP_vector_typeIfLj2EEiiiiS1_IjLj3EES5_S5_S5_,@function
_ZL33flash_attn_stream_k_fixup_generalILi96ELi64ELi1EEvPfPK15HIP_vector_typeIfLj2EEiiiiS1_IjLj3EES5_S5_S5_: ; @_ZL33flash_attn_stream_k_fixup_generalILi96ELi64ELi1EEvPfPK15HIP_vector_typeIfLj2EEiiiiS1_IjLj3EES5_S5_S5_
; %bb.0:
	s_clause 0x1
	s_load_b128 s[4:7], s[0:1], 0x10
	s_load_b32 s20, s[0:1], 0x50
	s_mov_b32 s2, 0
	s_waitcnt lgkmcnt(0)
	s_mul_hi_i32 s3, s7, s13
	s_mul_i32 s12, s7, s13
	s_cmp_lg_u64 s[2:3], 0
	s_cbranch_scc0 .LBB17_21
; %bb.1:
	v_cvt_f32_ubyte0_e32 v1, 0
	v_cvt_f32_u32_e32 v2, s20
	s_sub_u32 s10, 0, s20
	s_subb_u32 s11, 0, 0
	s_delay_alu instid0(VALU_DEP_1) | instskip(NEXT) | instid1(VALU_DEP_1)
	v_fmamk_f32 v1, v1, 0x4f800000, v2
	v_rcp_f32_e32 v1, v1
	s_waitcnt_depctr 0xfff
	v_mul_f32_e32 v1, 0x5f7ffffc, v1
	s_delay_alu instid0(VALU_DEP_1) | instskip(NEXT) | instid1(VALU_DEP_1)
	v_mul_f32_e32 v2, 0x2f800000, v1
	v_trunc_f32_e32 v2, v2
	s_delay_alu instid0(VALU_DEP_1) | instskip(SKIP_1) | instid1(VALU_DEP_2)
	v_fmamk_f32 v1, v2, 0xcf800000, v1
	v_cvt_u32_f32_e32 v2, v2
	v_cvt_u32_f32_e32 v1, v1
	s_delay_alu instid0(VALU_DEP_2) | instskip(NEXT) | instid1(VALU_DEP_2)
	v_readfirstlane_b32 s8, v2
	v_readfirstlane_b32 s9, v1
	s_delay_alu instid0(VALU_DEP_2) | instskip(NEXT) | instid1(VALU_DEP_1)
	s_mul_i32 s16, s10, s8
	s_mul_hi_u32 s18, s10, s9
	s_mul_i32 s17, s11, s9
	s_add_i32 s16, s18, s16
	s_mul_i32 s19, s10, s9
	s_add_i32 s16, s16, s17
	s_mul_hi_u32 s18, s9, s19
	s_mul_hi_u32 s21, s8, s19
	s_mul_i32 s17, s8, s19
	s_mul_hi_u32 s19, s9, s16
	s_mul_i32 s9, s9, s16
	s_mul_hi_u32 s22, s8, s16
	s_add_u32 s9, s18, s9
	s_addc_u32 s18, 0, s19
	s_add_u32 s9, s9, s17
	s_mul_i32 s16, s8, s16
	s_addc_u32 s9, s18, s21
	s_addc_u32 s17, s22, 0
	s_add_u32 s9, s9, s16
	s_addc_u32 s16, 0, s17
	v_add_co_u32 v1, s9, v1, s9
	s_delay_alu instid0(VALU_DEP_1) | instskip(SKIP_1) | instid1(VALU_DEP_1)
	s_cmp_lg_u32 s9, 0
	s_addc_u32 s8, s8, s16
	v_readfirstlane_b32 s9, v1
	s_mul_i32 s16, s10, s8
	s_delay_alu instid0(VALU_DEP_1)
	s_mul_hi_u32 s17, s10, s9
	s_mul_i32 s11, s11, s9
	s_add_i32 s16, s17, s16
	s_mul_i32 s10, s10, s9
	s_add_i32 s16, s16, s11
	s_mul_hi_u32 s17, s8, s10
	s_mul_i32 s18, s8, s10
	s_mul_hi_u32 s10, s9, s10
	s_mul_hi_u32 s19, s9, s16
	s_mul_i32 s9, s9, s16
	s_mul_hi_u32 s11, s8, s16
	s_add_u32 s9, s10, s9
	s_addc_u32 s10, 0, s19
	s_add_u32 s9, s9, s18
	s_mul_i32 s16, s8, s16
	s_addc_u32 s9, s10, s17
	s_addc_u32 s10, s11, 0
	s_add_u32 s9, s9, s16
	s_addc_u32 s10, 0, s10
	v_add_co_u32 v1, s9, v1, s9
	s_delay_alu instid0(VALU_DEP_1) | instskip(SKIP_2) | instid1(SALU_CYCLE_1)
	s_cmp_lg_u32 s9, 0
	s_addc_u32 s16, s8, s10
	s_ashr_i32 s8, s3, 31
	s_add_u32 s10, s12, s8
	s_addc_u32 s11, s3, s8
	v_readfirstlane_b32 s3, v1
	s_mov_b32 s9, s8
	s_delay_alu instid0(SALU_CYCLE_1) | instskip(NEXT) | instid1(SALU_CYCLE_1)
	s_xor_b64 s[10:11], s[10:11], s[8:9]
	s_mul_i32 s18, s10, s16
	s_delay_alu instid0(VALU_DEP_1)
	s_mul_hi_u32 s19, s10, s3
	s_mul_hi_u32 s17, s10, s16
	;; [unrolled: 1-line block ×3, first 2 shown]
	s_mul_i32 s3, s11, s3
	s_add_u32 s18, s19, s18
	s_addc_u32 s17, 0, s17
	s_mul_hi_u32 s21, s11, s16
	s_add_u32 s3, s18, s3
	s_mul_i32 s16, s11, s16
	s_addc_u32 s3, s17, s22
	s_addc_u32 s17, s21, 0
	s_add_u32 s3, s3, s16
	s_addc_u32 s16, 0, s17
	s_mul_i32 s18, s20, s3
	s_add_u32 s17, s3, 1
	v_sub_co_u32 v1, s10, s10, s18
	s_mul_hi_u32 s18, s20, s3
	s_addc_u32 s19, s16, 0
	s_mul_i32 s21, s20, s16
	s_delay_alu instid0(VALU_DEP_1)
	v_sub_co_u32 v2, s22, v1, s20
	s_add_u32 s23, s3, 2
	s_addc_u32 s24, s16, 0
	s_add_i32 s18, s18, s21
	s_cmp_lg_u32 s10, 0
	v_readfirstlane_b32 s10, v2
	s_subb_u32 s11, s11, s18
	s_cmp_lg_u32 s22, 0
	s_subb_u32 s18, s11, 0
	s_delay_alu instid0(VALU_DEP_1) | instskip(SKIP_4) | instid1(SALU_CYCLE_1)
	s_cmp_ge_u32 s10, s20
	s_cselect_b32 s10, -1, 0
	s_cmp_eq_u32 s18, 0
	v_readfirstlane_b32 s18, v1
	s_cselect_b32 s10, s10, -1
	s_cmp_lg_u32 s10, 0
	s_cselect_b32 s10, s23, s17
	s_cselect_b32 s17, s24, s19
	s_cmp_ge_u32 s18, s20
	s_cselect_b32 s18, -1, 0
	s_cmp_eq_u32 s11, 0
	s_cselect_b32 s11, s18, -1
	s_delay_alu instid0(SALU_CYCLE_1) | instskip(SKIP_2) | instid1(SALU_CYCLE_1)
	s_cmp_lg_u32 s11, 0
	s_cselect_b32 s11, s17, s16
	s_cselect_b32 s10, s10, s3
	s_xor_b64 s[10:11], s[10:11], s[8:9]
	s_delay_alu instid0(SALU_CYCLE_1)
	s_sub_u32 s16, s10, s8
	s_load_b128 s[8:11], s[0:1], 0x44
	s_and_not1_b32 vcc_lo, exec_lo, s2
	s_cbranch_vccnz .LBB17_3
.LBB17_2:
	v_cvt_f32_u32_e32 v1, s20
	s_sub_i32 s3, 0, s20
	s_delay_alu instid0(VALU_DEP_1) | instskip(SKIP_2) | instid1(VALU_DEP_1)
	v_rcp_iflag_f32_e32 v1, v1
	s_waitcnt_depctr 0xfff
	v_mul_f32_e32 v1, 0x4f7ffffe, v1
	v_cvt_u32_f32_e32 v1, v1
	s_delay_alu instid0(VALU_DEP_1) | instskip(NEXT) | instid1(VALU_DEP_1)
	v_readfirstlane_b32 s2, v1
	s_mul_i32 s3, s3, s2
	s_delay_alu instid0(SALU_CYCLE_1) | instskip(NEXT) | instid1(SALU_CYCLE_1)
	s_mul_hi_u32 s3, s2, s3
	s_add_i32 s2, s2, s3
	s_delay_alu instid0(SALU_CYCLE_1) | instskip(NEXT) | instid1(SALU_CYCLE_1)
	s_mul_hi_u32 s2, s12, s2
	s_mul_i32 s3, s2, s20
	s_waitcnt lgkmcnt(0)
	s_add_i32 s11, s2, 1
	s_sub_i32 s3, s12, s3
	s_delay_alu instid0(SALU_CYCLE_1)
	s_sub_i32 s12, s3, s20
	s_cmp_ge_u32 s3, s20
	s_cselect_b32 s2, s11, s2
	s_cselect_b32 s3, s12, s3
	s_add_i32 s11, s2, 1
	s_cmp_ge_u32 s3, s20
	s_cselect_b32 s16, s11, s2
.LBB17_3:
	s_waitcnt lgkmcnt(0)
	s_add_i32 s11, s13, 1
	s_mov_b32 s2, 0
	s_mul_hi_i32 s3, s7, s11
	s_mul_i32 s11, s7, s11
	s_cmp_lg_u64 s[2:3], 0
	s_cbranch_scc0 .LBB17_22
; %bb.4:
	v_cvt_f32_ubyte0_e32 v1, 0
	v_cvt_f32_u32_e32 v2, s20
	s_sub_u32 s18, 0, s20
	s_subb_u32 s19, 0, 0
	s_delay_alu instid0(VALU_DEP_1) | instskip(NEXT) | instid1(VALU_DEP_1)
	v_fmamk_f32 v1, v1, 0x4f800000, v2
	v_rcp_f32_e32 v1, v1
	s_waitcnt_depctr 0xfff
	v_mul_f32_e32 v1, 0x5f7ffffc, v1
	s_delay_alu instid0(VALU_DEP_1) | instskip(NEXT) | instid1(VALU_DEP_1)
	v_mul_f32_e32 v2, 0x2f800000, v1
	v_trunc_f32_e32 v2, v2
	s_delay_alu instid0(VALU_DEP_1) | instskip(SKIP_1) | instid1(VALU_DEP_2)
	v_fmamk_f32 v1, v2, 0xcf800000, v1
	v_cvt_u32_f32_e32 v2, v2
	v_cvt_u32_f32_e32 v1, v1
	s_delay_alu instid0(VALU_DEP_2) | instskip(NEXT) | instid1(VALU_DEP_2)
	v_readfirstlane_b32 s12, v2
	v_readfirstlane_b32 s17, v1
	s_delay_alu instid0(VALU_DEP_2) | instskip(NEXT) | instid1(VALU_DEP_1)
	s_mul_i32 s21, s18, s12
	s_mul_hi_u32 s23, s18, s17
	s_mul_i32 s22, s19, s17
	s_add_i32 s21, s23, s21
	s_mul_i32 s24, s18, s17
	s_add_i32 s21, s21, s22
	s_mul_hi_u32 s23, s17, s24
	s_mul_hi_u32 s25, s12, s24
	s_mul_i32 s22, s12, s24
	s_mul_hi_u32 s24, s17, s21
	s_mul_i32 s17, s17, s21
	s_mul_hi_u32 s26, s12, s21
	s_add_u32 s17, s23, s17
	s_addc_u32 s23, 0, s24
	s_add_u32 s17, s17, s22
	s_mul_i32 s21, s12, s21
	s_addc_u32 s17, s23, s25
	s_addc_u32 s22, s26, 0
	s_add_u32 s17, s17, s21
	s_addc_u32 s21, 0, s22
	v_add_co_u32 v1, s17, v1, s17
	s_delay_alu instid0(VALU_DEP_1) | instskip(SKIP_1) | instid1(VALU_DEP_1)
	s_cmp_lg_u32 s17, 0
	s_addc_u32 s12, s12, s21
	v_readfirstlane_b32 s17, v1
	s_mul_i32 s21, s18, s12
	s_delay_alu instid0(VALU_DEP_1)
	s_mul_hi_u32 s22, s18, s17
	s_mul_i32 s19, s19, s17
	s_add_i32 s21, s22, s21
	s_mul_i32 s18, s18, s17
	s_add_i32 s21, s21, s19
	s_mul_hi_u32 s22, s12, s18
	s_mul_i32 s23, s12, s18
	s_mul_hi_u32 s18, s17, s18
	s_mul_hi_u32 s24, s17, s21
	s_mul_i32 s17, s17, s21
	s_mul_hi_u32 s19, s12, s21
	s_add_u32 s17, s18, s17
	s_addc_u32 s18, 0, s24
	s_add_u32 s17, s17, s23
	s_mul_i32 s21, s12, s21
	s_addc_u32 s17, s18, s22
	s_addc_u32 s18, s19, 0
	s_add_u32 s17, s17, s21
	s_addc_u32 s18, 0, s18
	v_add_co_u32 v1, s17, v1, s17
	s_delay_alu instid0(VALU_DEP_1) | instskip(SKIP_2) | instid1(SALU_CYCLE_1)
	s_cmp_lg_u32 s17, 0
	s_addc_u32 s12, s12, s18
	s_ashr_i32 s18, s3, 31
	s_add_u32 s22, s11, s18
	s_addc_u32 s23, s3, s18
	v_readfirstlane_b32 s3, v1
	s_mov_b32 s19, s18
	s_delay_alu instid0(SALU_CYCLE_1) | instskip(NEXT) | instid1(SALU_CYCLE_1)
	s_xor_b64 s[22:23], s[22:23], s[18:19]
	s_mul_i32 s21, s22, s12
	s_delay_alu instid0(VALU_DEP_1)
	s_mul_hi_u32 s24, s22, s3
	s_mul_hi_u32 s17, s22, s12
	;; [unrolled: 1-line block ×3, first 2 shown]
	s_mul_i32 s3, s23, s3
	s_add_u32 s21, s24, s21
	s_addc_u32 s17, 0, s17
	s_mul_hi_u32 s25, s23, s12
	s_add_u32 s3, s21, s3
	s_mul_i32 s12, s23, s12
	s_addc_u32 s3, s17, s26
	s_addc_u32 s17, s25, 0
	s_add_u32 s3, s3, s12
	s_addc_u32 s12, 0, s17
	s_mul_i32 s21, s20, s3
	s_add_u32 s17, s3, 1
	v_sub_co_u32 v1, s21, s22, s21
	s_mul_hi_u32 s22, s20, s3
	s_addc_u32 s24, s12, 0
	s_mul_i32 s25, s20, s12
	s_delay_alu instid0(VALU_DEP_1)
	v_sub_co_u32 v2, s26, v1, s20
	s_add_u32 s27, s3, 2
	s_addc_u32 s28, s12, 0
	s_add_i32 s22, s22, s25
	s_cmp_lg_u32 s21, 0
	v_readfirstlane_b32 s21, v2
	s_subb_u32 s22, s23, s22
	s_cmp_lg_u32 s26, 0
	s_subb_u32 s23, s22, 0
	s_delay_alu instid0(VALU_DEP_1) | instskip(SKIP_4) | instid1(SALU_CYCLE_1)
	s_cmp_ge_u32 s21, s20
	s_cselect_b32 s21, -1, 0
	s_cmp_eq_u32 s23, 0
	v_readfirstlane_b32 s23, v1
	s_cselect_b32 s21, s21, -1
	s_cmp_lg_u32 s21, 0
	s_cselect_b32 s17, s27, s17
	s_cselect_b32 s21, s28, s24
	s_cmp_ge_u32 s23, s20
	s_cselect_b32 s23, -1, 0
	s_cmp_eq_u32 s22, 0
	s_cselect_b32 s22, s23, -1
	s_delay_alu instid0(SALU_CYCLE_1) | instskip(SKIP_2) | instid1(SALU_CYCLE_1)
	s_cmp_lg_u32 s22, 0
	s_cselect_b32 s23, s21, s12
	s_cselect_b32 s22, s17, s3
	s_xor_b64 s[22:23], s[22:23], s[18:19]
	s_delay_alu instid0(SALU_CYCLE_1)
	s_sub_u32 s18, s22, s18
	s_and_not1_b32 vcc_lo, exec_lo, s2
	s_cbranch_vccnz .LBB17_6
.LBB17_5:
	v_cvt_f32_u32_e32 v1, s20
	s_sub_i32 s3, 0, s20
	s_delay_alu instid0(VALU_DEP_1) | instskip(SKIP_2) | instid1(VALU_DEP_1)
	v_rcp_iflag_f32_e32 v1, v1
	s_waitcnt_depctr 0xfff
	v_mul_f32_e32 v1, 0x4f7ffffe, v1
	v_cvt_u32_f32_e32 v1, v1
	s_delay_alu instid0(VALU_DEP_1) | instskip(NEXT) | instid1(VALU_DEP_1)
	v_readfirstlane_b32 s2, v1
	s_mul_i32 s3, s3, s2
	s_delay_alu instid0(SALU_CYCLE_1) | instskip(NEXT) | instid1(SALU_CYCLE_1)
	s_mul_hi_u32 s3, s2, s3
	s_add_i32 s2, s2, s3
	s_delay_alu instid0(SALU_CYCLE_1) | instskip(NEXT) | instid1(SALU_CYCLE_1)
	s_mul_hi_u32 s2, s11, s2
	s_mul_i32 s3, s2, s20
	s_delay_alu instid0(SALU_CYCLE_1)
	s_sub_i32 s3, s11, s3
	s_add_i32 s11, s2, 1
	s_sub_i32 s12, s3, s20
	s_cmp_ge_u32 s3, s20
	s_cselect_b32 s2, s11, s2
	s_cselect_b32 s3, s12, s3
	s_add_i32 s11, s2, 1
	s_cmp_ge_u32 s3, s20
	s_cselect_b32 s18, s11, s2
.LBB17_6:
	s_delay_alu instid0(SALU_CYCLE_1) | instskip(SKIP_3) | instid1(SALU_CYCLE_1)
	s_cmp_eq_u32 s16, s18
	s_mul_hi_u32 s2, s16, s8
	s_cselect_b32 s3, -1, 0
	s_add_i32 s2, s2, s16
	s_lshr_b32 s11, s2, s9
	s_delay_alu instid0(SALU_CYCLE_1) | instskip(NEXT) | instid1(SALU_CYCLE_1)
	s_mul_i32 s2, s11, s10
	s_cmp_eq_u32 s2, s16
	s_mul_hi_u32 s2, s18, s8
	s_cselect_b32 s12, -1, 0
	s_add_i32 s2, s2, s18
	s_delay_alu instid0(SALU_CYCLE_1) | instskip(NEXT) | instid1(SALU_CYCLE_1)
	s_lshr_b32 s2, s2, s9
	s_cmp_eq_u32 s11, s2
	s_mul_i32 s2, s2, s10
	s_cselect_b32 s17, -1, 0
	s_cmp_lg_u32 s2, s18
	s_cselect_b32 s2, -1, 0
	s_or_b32 s3, s3, s12
	s_and_b32 s2, s17, s2
	s_delay_alu instid0(SALU_CYCLE_1) | instskip(NEXT) | instid1(SALU_CYCLE_1)
	s_or_b32 s2, s3, s2
	s_and_b32 vcc_lo, exec_lo, s2
	s_cbranch_vccnz .LBB17_24
; %bb.7:
	s_load_b256 s[24:31], s[0:1], 0x20
	s_waitcnt lgkmcnt(0)
	s_mul_hi_u32 s2, s16, s24
	s_delay_alu instid0(SALU_CYCLE_1) | instskip(NEXT) | instid1(SALU_CYCLE_1)
	s_add_i32 s2, s2, s16
	s_lshr_b32 s17, s2, s25
	s_load_b32 s2, s[0:1], 0x40
	s_mul_i32 s3, s17, s26
	s_delay_alu instid0(SALU_CYCLE_1) | instskip(NEXT) | instid1(SALU_CYCLE_1)
	s_sub_i32 s3, s16, s3
	s_mul_hi_u32 s12, s3, s27
	s_delay_alu instid0(SALU_CYCLE_1) | instskip(NEXT) | instid1(SALU_CYCLE_1)
	s_add_i32 s12, s3, s12
	s_lshr_b32 s19, s12, s28
	s_delay_alu instid0(SALU_CYCLE_1) | instskip(NEXT) | instid1(SALU_CYCLE_1)
	s_mul_i32 s12, s19, s29
	s_sub_i32 s3, s3, s12
	s_delay_alu instid0(SALU_CYCLE_1) | instskip(NEXT) | instid1(SALU_CYCLE_1)
	s_mul_hi_u32 s12, s3, s30
	s_add_i32 s12, s3, s12
	s_delay_alu instid0(SALU_CYCLE_1) | instskip(SKIP_3) | instid1(SALU_CYCLE_1)
	s_lshr_b32 s21, s12, s31
	s_mov_b32 s12, 0
	s_waitcnt lgkmcnt(0)
	s_mul_i32 s2, s21, s2
	s_sub_i32 s2, s3, s2
	s_delay_alu instid0(SALU_CYCLE_1) | instskip(NEXT) | instid1(SALU_CYCLE_1)
	s_mul_hi_u32 s3, s2, s8
	s_add_i32 s2, s2, s3
	s_delay_alu instid0(SALU_CYCLE_1) | instskip(NEXT) | instid1(SALU_CYCLE_1)
	s_lshr_b32 s18, s2, s9
	s_lshl_b32 s2, s18, 6
	s_delay_alu instid0(SALU_CYCLE_1) | instskip(NEXT) | instid1(SALU_CYCLE_1)
	s_add_i32 s2, s2, s14
	s_cmp_lt_i32 s2, s4
	s_cselect_b32 s2, -1, 0
	s_add_i32 s21, s21, s15
	s_delay_alu instid0(SALU_CYCLE_1) | instskip(SKIP_1) | instid1(SALU_CYCLE_1)
	s_cmp_lt_i32 s21, s6
	s_cselect_b32 s3, -1, 0
	s_and_b32 s2, s2, s3
	s_delay_alu instid0(SALU_CYCLE_1)
	s_and_not1_b32 vcc_lo, exec_lo, s2
	s_cbranch_vccnz .LBB17_24
; %bb.8:
	s_load_b128 s[0:3], s[0:1], 0x0
	s_lshl_b32 s22, s20, 8
	s_mov_b32 s23, s12
	s_add_i32 s15, s14, s15
	s_lshl_b64 s[22:23], s[22:23], 2
	s_mul_i32 s4, s17, s4
	s_mul_i32 s19, s19, s6
	v_cvt_f32_ubyte0_e32 v3, 0
	v_cvt_f32_u32_e32 v4, s20
	s_waitcnt lgkmcnt(0)
	s_add_u32 s6, s2, s22
	s_addc_u32 s17, s3, s23
	s_add_i32 s4, s4, s14
	s_add_i32 s14, s21, s19
	s_mul_i32 s4, s4, s5
	s_mul_i32 s5, s5, s18
	s_add_i32 s4, s14, s4
	s_mulk_i32 s5, 0x1800
	s_mulk_i32 s4, 0x60
	s_delay_alu instid0(SALU_CYCLE_1) | instskip(NEXT) | instid1(VALU_DEP_1)
	v_add3_u32 v1, s5, s4, v0
	v_ashrrev_i32_e32 v2, 31, v1
	s_delay_alu instid0(VALU_DEP_1) | instskip(NEXT) | instid1(VALU_DEP_1)
	v_lshlrev_b64 v[1:2], 2, v[1:2]
	v_add_co_u32 v1, vcc_lo, s0, v1
	s_delay_alu instid0(VALU_DEP_2) | instskip(SKIP_1) | instid1(SALU_CYCLE_1)
	v_add_co_ci_u32_e32 v2, vcc_lo, s1, v2, vcc_lo
	s_lshl_b32 s0, s13, 6
	s_add_i32 s0, s0, s15
	global_load_b32 v5, v[1:2], off
	s_ashr_i32 s1, s0, 31
	s_delay_alu instid0(SALU_CYCLE_1) | instskip(NEXT) | instid1(SALU_CYCLE_1)
	s_lshl_b64 s[0:1], s[0:1], 3
	s_add_u32 s0, s2, s0
	s_addc_u32 s1, s3, s1
	s_add_i32 s18, s13, -1
	s_load_b64 s[0:1], s[0:1], 0x0
	v_fmac_f32_e32 v4, 0x4f800000, v3
	s_sub_i32 s14, 0, s20
	s_delay_alu instid0(VALU_DEP_1)
	v_rcp_f32_e32 v3, v4
	s_waitcnt_depctr 0xfff
	v_mul_f32_e32 v6, 0x5f7ffffc, v3
	v_cvt_f32_u32_e32 v3, s20
	s_waitcnt lgkmcnt(0)
	v_mov_b32_e32 v8, s0
	s_delay_alu instid0(VALU_DEP_3) | instskip(NEXT) | instid1(VALU_DEP_3)
	v_mul_f32_e32 v4, 0x2f800000, v6
	v_rcp_iflag_f32_e32 v7, v3
	s_delay_alu instid0(VALU_DEP_1) | instskip(SKIP_1) | instid1(VALU_DEP_2)
	v_trunc_f32_e32 v9, v4
	v_mad_u64_u32 v[3:4], null, 0x60, s15, v[0:1]
	v_fmac_f32_e32 v6, 0xcf800000, v9
	s_waitcnt_depctr 0xfff
	v_dual_mul_f32 v10, 0x4f7ffffe, v7 :: v_dual_mov_b32 v7, s1
	v_cvt_u32_f32_e32 v4, v9
	v_cvt_u32_f32_e32 v0, v6
	s_delay_alu instid0(VALU_DEP_3)
	v_cvt_u32_f32_e32 v6, v10
.LBB17_9:                               ; =>This Inner Loop Header: Depth=1
	s_mul_hi_i32 s13, s18, s7
	s_mul_i32 s4, s18, s7
	s_cmp_lg_u64 s[12:13], 0
	s_mov_b32 s5, -1
                                        ; implicit-def: $sgpr0_sgpr1
	s_cbranch_scc0 .LBB17_11
; %bb.10:                               ;   in Loop: Header=BB17_9 Depth=1
	v_readfirstlane_b32 s0, v0
	v_readfirstlane_b32 s1, v4
	s_sub_u32 s5, 0, s20
	s_subb_u32 s19, 0, 0
	s_delay_alu instid0(VALU_DEP_2) | instskip(NEXT) | instid1(VALU_DEP_1)
	s_mul_hi_u32 s21, s5, s0
	s_mul_i32 s22, s5, s1
	s_mul_i32 s23, s19, s0
	s_add_i32 s21, s21, s22
	s_mul_i32 s22, s5, s0
	s_add_i32 s21, s21, s23
	s_mul_hi_u32 s23, s0, s22
	s_mul_i32 s24, s0, s21
	s_mul_hi_u32 s0, s0, s21
	s_add_u32 s23, s23, s24
	s_mul_i32 s25, s1, s22
	s_addc_u32 s0, 0, s0
	s_mul_hi_u32 s22, s1, s22
	s_mul_hi_u32 s24, s1, s21
	s_add_u32 s23, s23, s25
	s_addc_u32 s0, s0, s22
	s_mul_i32 s21, s1, s21
	s_addc_u32 s22, s24, 0
	s_add_u32 s0, s0, s21
	s_addc_u32 s21, 0, s22
	v_add_co_u32 v9, s0, v0, s0
	s_delay_alu instid0(VALU_DEP_1) | instskip(SKIP_1) | instid1(VALU_DEP_1)
	s_cmp_lg_u32 s0, 0
	s_addc_u32 s1, s1, s21
	v_readfirstlane_b32 s0, v9
	s_mul_i32 s21, s5, s1
	s_delay_alu instid0(VALU_DEP_1)
	s_mul_hi_u32 s22, s5, s0
	s_mul_i32 s19, s19, s0
	s_add_i32 s21, s22, s21
	s_mul_i32 s5, s5, s0
	s_add_i32 s21, s21, s19
	s_mul_hi_u32 s19, s1, s5
	s_mul_i32 s23, s1, s5
	s_mul_i32 s24, s0, s21
	s_mul_hi_u32 s5, s0, s5
	s_mul_hi_u32 s0, s0, s21
	s_add_u32 s5, s5, s24
	s_addc_u32 s0, 0, s0
	s_mul_hi_u32 s22, s1, s21
	s_add_u32 s5, s5, s23
	s_addc_u32 s0, s0, s19
	s_mul_i32 s5, s1, s21
	s_addc_u32 s19, s22, 0
	s_add_u32 s0, s0, s5
	s_addc_u32 s5, 0, s19
	v_add_co_u32 v9, s0, v9, s0
	s_delay_alu instid0(VALU_DEP_1) | instskip(SKIP_2) | instid1(SALU_CYCLE_1)
	s_cmp_lg_u32 s0, 0
	s_addc_u32 s5, s1, s5
	s_ashr_i32 s0, s13, 31
	s_add_u32 s22, s4, s0
	s_addc_u32 s23, s13, s0
	v_readfirstlane_b32 s13, v9
	s_mov_b32 s1, s0
	s_delay_alu instid0(SALU_CYCLE_1) | instskip(NEXT) | instid1(SALU_CYCLE_1)
	s_xor_b64 s[22:23], s[22:23], s[0:1]
	s_mul_i32 s19, s22, s5
	s_delay_alu instid0(VALU_DEP_1)
	s_mul_hi_u32 s21, s22, s13
	s_mul_hi_u32 s24, s22, s5
	s_add_u32 s19, s21, s19
	s_mul_i32 s25, s23, s13
	s_addc_u32 s21, 0, s24
	s_mul_hi_u32 s13, s23, s13
	s_mul_hi_u32 s24, s23, s5
	s_add_u32 s19, s19, s25
	s_addc_u32 s13, s21, s13
	s_mul_i32 s5, s23, s5
	s_addc_u32 s19, s24, 0
	s_add_u32 s5, s13, s5
	s_addc_u32 s13, 0, s19
	s_mul_i32 s21, s20, s5
	s_add_u32 s19, s5, 1
	v_sub_co_u32 v9, s21, s22, s21
	s_addc_u32 s22, s13, 0
	s_mul_i32 s25, s20, s13
	s_mul_hi_u32 s27, s20, s5
	s_delay_alu instid0(VALU_DEP_1)
	v_sub_co_u32 v10, s26, v9, s20
	s_add_u32 s24, s5, 2
	s_addc_u32 s28, s13, 0
	s_add_i32 s27, s27, s25
	s_cmp_lg_u32 s21, 0
	v_readfirstlane_b32 s21, v10
	s_subb_u32 s23, s23, s27
	s_cmp_lg_u32 s26, 0
	s_subb_u32 s25, s23, 0
	s_delay_alu instid0(VALU_DEP_1) | instskip(SKIP_4) | instid1(SALU_CYCLE_1)
	s_cmp_ge_u32 s21, s20
	s_cselect_b32 s21, -1, 0
	s_cmp_eq_u32 s25, 0
	v_readfirstlane_b32 s25, v9
	s_cselect_b32 s21, s21, -1
	s_cmp_lg_u32 s21, 0
	s_cselect_b32 s19, s24, s19
	s_cselect_b32 s21, s28, s22
	s_cmp_ge_u32 s25, s20
	s_cselect_b32 s22, -1, 0
	s_cmp_eq_u32 s23, 0
	s_cselect_b32 s22, s22, -1
	s_delay_alu instid0(SALU_CYCLE_1) | instskip(SKIP_4) | instid1(SALU_CYCLE_1)
	s_cmp_lg_u32 s22, 0
	s_cselect_b32 s23, s21, s13
	s_cselect_b32 s22, s19, s5
	s_mov_b32 s5, 0
	s_xor_b64 s[22:23], s[22:23], s[0:1]
	s_sub_u32 s0, s22, s0
.LBB17_11:                              ;   in Loop: Header=BB17_9 Depth=1
	s_and_not1_b32 vcc_lo, exec_lo, s5
	s_cbranch_vccnz .LBB17_13
; %bb.12:                               ;   in Loop: Header=BB17_9 Depth=1
	v_readfirstlane_b32 s0, v6
	s_delay_alu instid0(VALU_DEP_1) | instskip(NEXT) | instid1(SALU_CYCLE_1)
	s_mul_i32 s1, s14, s0
	s_mul_hi_u32 s1, s0, s1
	s_delay_alu instid0(SALU_CYCLE_1) | instskip(NEXT) | instid1(SALU_CYCLE_1)
	s_add_i32 s0, s0, s1
	s_mul_hi_u32 s0, s4, s0
	s_delay_alu instid0(SALU_CYCLE_1) | instskip(NEXT) | instid1(SALU_CYCLE_1)
	s_mul_i32 s1, s0, s20
	s_sub_i32 s1, s4, s1
	s_add_i32 s4, s0, 1
	s_sub_i32 s5, s1, s20
	s_cmp_ge_u32 s1, s20
	s_cselect_b32 s0, s4, s0
	s_cselect_b32 s1, s5, s1
	s_add_i32 s4, s0, 1
	s_cmp_ge_u32 s1, s20
	s_cselect_b32 s0, s4, s0
.LBB17_13:                              ;   in Loop: Header=BB17_9 Depth=1
	s_delay_alu instid0(SALU_CYCLE_1)
	s_cmp_lg_u32 s16, s0
	s_cbranch_scc0 .LBB17_17
; %bb.14:                               ;   in Loop: Header=BB17_9 Depth=1
	s_add_i32 s1, s18, s20
	s_mov_b32 s5, s12
	s_lshl_b32 s1, s1, 6
	s_mov_b32 s19, s16
	s_add_i32 s4, s1, s15
	s_mul_hi_u32 s1, s0, s8
	s_lshl_b64 s[4:5], s[4:5], 3
	s_delay_alu instid0(SALU_CYCLE_1) | instskip(SKIP_2) | instid1(SALU_CYCLE_1)
	s_add_u32 s4, s2, s4
	s_addc_u32 s5, s3, s5
	s_add_i32 s1, s1, s0
	s_lshr_b32 s1, s1, s9
	s_delay_alu instid0(SALU_CYCLE_1) | instskip(NEXT) | instid1(SALU_CYCLE_1)
	s_mul_i32 s13, s1, s10
	s_cmp_eq_u32 s13, s0
	s_cselect_b32 s13, -1, 0
	s_cmp_lt_u32 s1, s11
	s_cselect_b32 s1, -1, 0
	s_delay_alu instid0(SALU_CYCLE_1)
	s_or_b32 s1, s1, s13
	s_mov_b32 s13, -1
	s_and_b32 vcc_lo, exec_lo, s1
	s_mov_b32 s1, s18
	s_cbranch_vccnz .LBB17_16
; %bb.15:                               ;   in Loop: Header=BB17_9 Depth=1
	s_add_i32 s1, s18, -1
	s_mov_b32 s13, 0
	s_mov_b32 s19, s0
.LBB17_16:                              ;   in Loop: Header=BB17_9 Depth=1
	v_mad_u64_u32 v[9:10], null, 0x1800, s18, v[3:4]
	s_load_b64 s[4:5], s[4:5], 0x0
	s_delay_alu instid0(VALU_DEP_1) | instskip(NEXT) | instid1(VALU_DEP_1)
	v_ashrrev_i32_e32 v10, 31, v9
	v_lshlrev_b64 v[9:10], 2, v[9:10]
	s_delay_alu instid0(VALU_DEP_1) | instskip(NEXT) | instid1(VALU_DEP_2)
	v_add_co_u32 v9, vcc_lo, s6, v9
	v_add_co_ci_u32_e32 v10, vcc_lo, s17, v10, vcc_lo
	s_waitcnt lgkmcnt(0)
	v_max_f32_e64 v11, s4, s4
	global_load_b32 v10, v[9:10], off
	v_max_f32_e32 v9, v8, v8
	s_delay_alu instid0(VALU_DEP_1) | instskip(NEXT) | instid1(VALU_DEP_1)
	v_max_f32_e32 v9, v9, v11
	v_sub_f32_e32 v12, v8, v9
	s_delay_alu instid0(VALU_DEP_1) | instskip(NEXT) | instid1(VALU_DEP_1)
	v_dual_mul_f32 v14, 0x3fb8aa3b, v12 :: v_dual_sub_f32 v11, s4, v9
	v_rndne_f32_e32 v18, v14
	s_delay_alu instid0(VALU_DEP_2) | instskip(SKIP_2) | instid1(VALU_DEP_4)
	v_mul_f32_e32 v13, 0x3fb8aa3b, v11
	v_fma_f32 v17, 0x3fb8aa3b, v12, -v14
	v_cmp_ngt_f32_e32 vcc_lo, 0xc2ce8ed0, v11
	v_sub_f32_e32 v14, v14, v18
	s_delay_alu instid0(VALU_DEP_4) | instskip(SKIP_2) | instid1(VALU_DEP_3)
	v_fma_f32 v15, 0x3fb8aa3b, v11, -v13
	v_rndne_f32_e32 v16, v13
	v_fmac_f32_e32 v17, 0x32a5705f, v12
	v_fmac_f32_e32 v15, 0x32a5705f, v11
	s_delay_alu instid0(VALU_DEP_2) | instskip(NEXT) | instid1(VALU_DEP_1)
	v_dual_sub_f32 v13, v13, v16 :: v_dual_add_f32 v14, v14, v17
	v_add_f32_e32 v13, v13, v15
	s_delay_alu instid0(VALU_DEP_2) | instskip(SKIP_2) | instid1(VALU_DEP_3)
	v_exp_f32_e32 v14, v14
	v_cvt_i32_f32_e32 v15, v16
	v_cvt_i32_f32_e32 v16, v18
	v_exp_f32_e32 v13, v13
	s_waitcnt_depctr 0xfff
	v_ldexp_f32 v14, v14, v16
	v_ldexp_f32 v13, v13, v15
	s_delay_alu instid0(VALU_DEP_1) | instskip(SKIP_1) | instid1(VALU_DEP_4)
	v_cndmask_b32_e32 v13, 0, v13, vcc_lo
	v_cmp_ngt_f32_e32 vcc_lo, 0xc2ce8ed0, v12
	v_cndmask_b32_e32 v14, 0, v14, vcc_lo
	v_cmp_nlt_f32_e32 vcc_lo, 0x42b17218, v11
	s_delay_alu instid0(VALU_DEP_4) | instskip(SKIP_1) | instid1(VALU_DEP_4)
	v_cndmask_b32_e32 v13, 0x7f800000, v13, vcc_lo
	v_cmp_nlt_f32_e32 vcc_lo, 0x42b17218, v12
	v_cndmask_b32_e32 v14, 0x7f800000, v14, vcc_lo
	v_cmp_le_f32_e32 vcc_lo, 0xc1a00000, v11
	s_delay_alu instid0(VALU_DEP_4) | instskip(SKIP_1) | instid1(VALU_DEP_4)
	v_cndmask_b32_e32 v11, 0, v13, vcc_lo
	v_cmp_le_f32_e32 vcc_lo, 0xc1a00000, v12
	v_cndmask_b32_e32 v12, 0, v14, vcc_lo
	s_waitcnt vmcnt(0)
	s_delay_alu instid0(VALU_DEP_3) | instskip(NEXT) | instid1(VALU_DEP_1)
	v_mul_f32_e32 v10, v10, v11
	v_dual_mul_f32 v11, s5, v11 :: v_dual_fmac_f32 v10, v5, v12
	s_delay_alu instid0(VALU_DEP_1)
	v_fmac_f32_e32 v11, v7, v12
	s_cbranch_execz .LBB17_18
	s_branch .LBB17_19
.LBB17_17:                              ;   in Loop: Header=BB17_9 Depth=1
                                        ; implicit-def: $sgpr13
                                        ; implicit-def: $vgpr10
                                        ; implicit-def: $vgpr9
                                        ; implicit-def: $vgpr11
                                        ; implicit-def: $sgpr1
                                        ; implicit-def: $sgpr19
.LBB17_18:                              ;   in Loop: Header=BB17_9 Depth=1
	s_waitcnt vmcnt(0)
	v_dual_mov_b32 v11, v7 :: v_dual_mov_b32 v10, v5
	v_mov_b32_e32 v9, v8
	s_add_i32 s1, s18, -1
	s_mov_b32 s13, 0
	s_mov_b32 s19, s16
.LBB17_19:                              ;   in Loop: Header=BB17_9 Depth=1
	s_and_not1_b32 vcc_lo, exec_lo, s13
	s_cbranch_vccz .LBB17_23
; %bb.20:                               ;   in Loop: Header=BB17_9 Depth=1
	v_dual_mov_b32 v7, v11 :: v_dual_mov_b32 v8, v9
	s_waitcnt vmcnt(0)
	v_mov_b32_e32 v5, v10
	s_mov_b32 s16, s19
	s_mov_b32 s18, s1
	s_branch .LBB17_9
.LBB17_21:
                                        ; implicit-def: $sgpr16_sgpr17
	s_load_b128 s[8:11], s[0:1], 0x44
	s_branch .LBB17_2
.LBB17_22:
                                        ; implicit-def: $sgpr18_sgpr19
	s_branch .LBB17_5
.LBB17_23:
	v_div_scale_f32 v0, null, v11, v11, v10
	s_delay_alu instid0(VALU_DEP_1) | instskip(SKIP_2) | instid1(VALU_DEP_1)
	v_rcp_f32_e32 v3, v0
	s_waitcnt_depctr 0xfff
	v_fma_f32 v4, -v0, v3, 1.0
	v_fmac_f32_e32 v3, v4, v3
	v_div_scale_f32 v4, vcc_lo, v10, v11, v10
	s_waitcnt vmcnt(0)
	s_delay_alu instid0(VALU_DEP_1) | instskip(NEXT) | instid1(VALU_DEP_1)
	v_mul_f32_e32 v5, v4, v3
	v_fma_f32 v6, -v0, v5, v4
	s_delay_alu instid0(VALU_DEP_1) | instskip(NEXT) | instid1(VALU_DEP_1)
	v_fmac_f32_e32 v5, v6, v3
	v_fma_f32 v0, -v0, v5, v4
	s_delay_alu instid0(VALU_DEP_1) | instskip(NEXT) | instid1(VALU_DEP_1)
	v_div_fmas_f32 v0, v0, v3, v5
	v_div_fixup_f32 v0, v0, v11, v10
	global_store_b32 v[1:2], v0, off
.LBB17_24:
	s_nop 0
	s_sendmsg sendmsg(MSG_DEALLOC_VGPRS)
	s_endpgm
	.section	.rodata,"a",@progbits
	.p2align	6, 0x0
	.amdhsa_kernel _ZL33flash_attn_stream_k_fixup_generalILi96ELi64ELi1EEvPfPK15HIP_vector_typeIfLj2EEiiiiS1_IjLj3EES5_S5_S5_
		.amdhsa_group_segment_fixed_size 0
		.amdhsa_private_segment_fixed_size 0
		.amdhsa_kernarg_size 336
		.amdhsa_user_sgpr_count 13
		.amdhsa_user_sgpr_dispatch_ptr 0
		.amdhsa_user_sgpr_queue_ptr 0
		.amdhsa_user_sgpr_kernarg_segment_ptr 1
		.amdhsa_user_sgpr_dispatch_id 0
		.amdhsa_user_sgpr_private_segment_size 0
		.amdhsa_wavefront_size32 1
		.amdhsa_uses_dynamic_stack 0
		.amdhsa_enable_private_segment 0
		.amdhsa_system_sgpr_workgroup_id_x 1
		.amdhsa_system_sgpr_workgroup_id_y 1
		.amdhsa_system_sgpr_workgroup_id_z 1
		.amdhsa_system_sgpr_workgroup_info 0
		.amdhsa_system_vgpr_workitem_id 0
		.amdhsa_next_free_vgpr 19
		.amdhsa_next_free_sgpr 32
		.amdhsa_reserve_vcc 1
		.amdhsa_float_round_mode_32 0
		.amdhsa_float_round_mode_16_64 0
		.amdhsa_float_denorm_mode_32 3
		.amdhsa_float_denorm_mode_16_64 3
		.amdhsa_dx10_clamp 1
		.amdhsa_ieee_mode 1
		.amdhsa_fp16_overflow 0
		.amdhsa_workgroup_processor_mode 1
		.amdhsa_memory_ordered 1
		.amdhsa_forward_progress 0
		.amdhsa_shared_vgpr_count 0
		.amdhsa_exception_fp_ieee_invalid_op 0
		.amdhsa_exception_fp_denorm_src 0
		.amdhsa_exception_fp_ieee_div_zero 0
		.amdhsa_exception_fp_ieee_overflow 0
		.amdhsa_exception_fp_ieee_underflow 0
		.amdhsa_exception_fp_ieee_inexact 0
		.amdhsa_exception_int_div_zero 0
	.end_amdhsa_kernel
	.section	.text._ZL33flash_attn_stream_k_fixup_generalILi96ELi64ELi1EEvPfPK15HIP_vector_typeIfLj2EEiiiiS1_IjLj3EES5_S5_S5_,"axG",@progbits,_ZL33flash_attn_stream_k_fixup_generalILi96ELi64ELi1EEvPfPK15HIP_vector_typeIfLj2EEiiiiS1_IjLj3EES5_S5_S5_,comdat
.Lfunc_end17:
	.size	_ZL33flash_attn_stream_k_fixup_generalILi96ELi64ELi1EEvPfPK15HIP_vector_typeIfLj2EEiiiiS1_IjLj3EES5_S5_S5_, .Lfunc_end17-_ZL33flash_attn_stream_k_fixup_generalILi96ELi64ELi1EEvPfPK15HIP_vector_typeIfLj2EEiiiiS1_IjLj3EES5_S5_S5_
                                        ; -- End function
	.section	.AMDGPU.csdata,"",@progbits
; Kernel info:
; codeLenInByte = 3220
; NumSgprs: 34
; NumVgprs: 19
; ScratchSize: 0
; MemoryBound: 0
; FloatMode: 240
; IeeeMode: 1
; LDSByteSize: 0 bytes/workgroup (compile time only)
; SGPRBlocks: 4
; VGPRBlocks: 2
; NumSGPRsForWavesPerEU: 34
; NumVGPRsForWavesPerEU: 19
; Occupancy: 16
; WaveLimiterHint : 0
; COMPUTE_PGM_RSRC2:SCRATCH_EN: 0
; COMPUTE_PGM_RSRC2:USER_SGPR: 13
; COMPUTE_PGM_RSRC2:TRAP_HANDLER: 0
; COMPUTE_PGM_RSRC2:TGID_X_EN: 1
; COMPUTE_PGM_RSRC2:TGID_Y_EN: 1
; COMPUTE_PGM_RSRC2:TGID_Z_EN: 1
; COMPUTE_PGM_RSRC2:TIDIG_COMP_CNT: 0
	.section	.text._ZL26flash_attn_combine_resultsILi96EEvPKfPK15HIP_vector_typeIfLj2EEPfi,"axG",@progbits,_ZL26flash_attn_combine_resultsILi96EEvPKfPK15HIP_vector_typeIfLj2EEPfi,comdat
	.globl	_ZL26flash_attn_combine_resultsILi96EEvPKfPK15HIP_vector_typeIfLj2EEPfi ; -- Begin function _ZL26flash_attn_combine_resultsILi96EEvPKfPK15HIP_vector_typeIfLj2EEPfi
	.p2align	8
	.type	_ZL26flash_attn_combine_resultsILi96EEvPKfPK15HIP_vector_typeIfLj2EEPfi,@function
_ZL26flash_attn_combine_resultsILi96EEvPKfPK15HIP_vector_typeIfLj2EEPfi: ; @_ZL26flash_attn_combine_resultsILi96EEvPKfPK15HIP_vector_typeIfLj2EEPfi
; %bb.0:
	s_clause 0x3
	s_load_b64 s[2:3], s[0:1], 0x20
	s_load_b32 s12, s[0:1], 0x18
	s_load_b128 s[8:11], s[0:1], 0x0
	s_load_b64 s[16:17], s[0:1], 0x10
	v_lshlrev_b32_e32 v7, 2, v0
	s_mov_b32 s4, exec_lo
	s_waitcnt lgkmcnt(0)
	s_mul_i32 s0, s2, s15
	s_lshl_b32 s1, s12, 1
	s_add_i32 s0, s0, s13
	s_delay_alu instid0(SALU_CYCLE_1) | instskip(NEXT) | instid1(SALU_CYCLE_1)
	s_mul_i32 s7, s0, s3
	s_add_i32 s7, s7, s14
	s_delay_alu instid0(SALU_CYCLE_1)
	s_mul_i32 s2, s7, s12
	v_cmpx_gt_i32_e64 s1, v0
	s_cbranch_execz .LBB18_3
; %bb.1:
	s_ashr_i32 s3, s2, 31
	v_dual_mov_b32 v4, v0 :: v_dual_add_nc_u32 v3, 0, v7
	s_lshl_b64 s[14:15], s[2:3], 3
	s_delay_alu instid0(SALU_CYCLE_1) | instskip(SKIP_2) | instid1(VALU_DEP_1)
	s_add_u32 s0, s10, s14
	s_addc_u32 s3, s11, s15
	v_add_co_u32 v1, s0, s0, v7
	v_add_co_ci_u32_e64 v2, null, s3, 0, s0
	s_mov_b32 s3, 0
	.p2align	6
.LBB18_2:                               ; =>This Inner Loop Header: Depth=1
	global_load_b32 v5, v[1:2], off
	v_add_nc_u32_e32 v4, 0x60, v4
	v_add_co_u32 v1, vcc_lo, 0x180, v1
	v_add_co_ci_u32_e32 v2, vcc_lo, 0, v2, vcc_lo
	s_delay_alu instid0(VALU_DEP_3) | instskip(NEXT) | instid1(VALU_DEP_1)
	v_cmp_le_i32_e64 s0, s1, v4
	s_or_b32 s3, s0, s3
	s_waitcnt vmcnt(0)
	ds_store_b32 v3, v5
	v_add_nc_u32_e32 v3, 0x180, v3
	s_and_not1_b32 exec_lo, exec_lo, s3
	s_cbranch_execnz .LBB18_2
.LBB18_3:
	s_or_b32 exec_lo, exec_lo, s4
	v_mov_b32_e32 v1, 0
	s_waitcnt lgkmcnt(0)
	s_barrier
	buffer_gl0_inv
	s_cmp_lt_i32 s12, 2
	ds_load_b32 v8, v1
	s_cbranch_scc1 .LBB18_11
; %bb.4:
	s_add_i32 s1, s12, -2
	s_add_i32 s0, s12, -1
	s_cmp_lt_u32 s1, 7
	s_cbranch_scc1 .LBB18_8
; %bb.5:
	s_mov_b32 s3, 0
	s_add_i32 s1, 0, 8
	s_and_b32 s4, s0, -8
	.p2align	6
.LBB18_6:                               ; =>This Inner Loop Header: Depth=1
	v_mov_b32_e32 v9, s1
	s_mov_b32 s5, s3
	s_add_i32 s3, s3, 8
	s_add_i32 s1, s1, 64
	s_cmp_eq_u32 s4, s3
	ds_load_2addr_b32 v[1:2], v9 offset1:2
	ds_load_2addr_b32 v[3:4], v9 offset0:4 offset1:6
	ds_load_2addr_b32 v[5:6], v9 offset0:8 offset1:10
	;; [unrolled: 1-line block ×3, first 2 shown]
	s_waitcnt lgkmcnt(3)
	v_max3_f32 v1, v8, v1, v2
	s_waitcnt lgkmcnt(2)
	s_delay_alu instid0(VALU_DEP_1) | instskip(SKIP_1) | instid1(VALU_DEP_1)
	v_max3_f32 v1, v1, v3, v4
	s_waitcnt lgkmcnt(1)
	v_max3_f32 v1, v1, v5, v6
	s_waitcnt lgkmcnt(0)
	s_delay_alu instid0(VALU_DEP_1)
	v_max3_f32 v8, v1, v9, v10
	s_cbranch_scc0 .LBB18_6
; %bb.7:
	s_add_i32 s1, s5, 9
	s_and_b32 s0, s0, 7
	s_delay_alu instid0(SALU_CYCLE_1)
	s_cmp_eq_u32 s0, 0
	s_cbranch_scc0 .LBB18_9
	s_branch .LBB18_11
.LBB18_8:
	s_mov_b32 s1, 1
	s_and_b32 s0, s0, 7
	s_delay_alu instid0(SALU_CYCLE_1)
	s_cmp_eq_u32 s0, 0
	s_cbranch_scc1 .LBB18_11
.LBB18_9:
	s_lshl_b32 s1, s1, 3
	s_delay_alu instid0(SALU_CYCLE_1)
	s_add_i32 s1, s1, 0
.LBB18_10:                              ; =>This Inner Loop Header: Depth=1
	s_waitcnt lgkmcnt(0)
	s_delay_alu instid0(VALU_DEP_1)
	v_dual_mov_b32 v1, s1 :: v_dual_max_f32 v2, v8, v8
	s_add_i32 s0, s0, -1
	s_add_i32 s1, s1, 8
	s_cmp_lg_u32 s0, 0
	ds_load_b32 v1, v1
	s_waitcnt lgkmcnt(0)
	v_max_f32_e32 v1, v1, v1
	s_delay_alu instid0(VALU_DEP_1)
	v_max_f32_e32 v8, v2, v1
	s_cbranch_scc1 .LBB18_10
.LBB18_11:
	s_cmp_lt_i32 s12, 1
	s_cbranch_scc1 .LBB18_16
; %bb.12:
	s_mul_i32 s10, s2, 0x60
	v_mov_b32_e32 v9, 0
	s_ashr_i32 s11, s10, 31
	s_cmp_lt_u32 s12, 8
	s_mov_b32 s14, 0
	s_cbranch_scc1 .LBB18_17
; %bb.13:
	s_lshl_b64 s[0:1], s[10:11], 2
	v_or_b32_e32 v3, 0x180, v0
	s_add_u32 s15, s8, s0
	s_addc_u32 s18, s9, s1
	v_add_co_u32 v1, s0, s15, v7
	s_delay_alu instid0(VALU_DEP_1) | instskip(SKIP_1) | instid1(VALU_DEP_3)
	v_add_co_ci_u32_e64 v2, null, s18, 0, s0
	v_dual_mov_b32 v6, 0 :: v_dual_mov_b32 v9, 0
	v_add_co_u32 v1, vcc_lo, 0x180, v1
	s_delay_alu instid0(VALU_DEP_3)
	v_add_co_ci_u32_e32 v2, vcc_lo, 0, v2, vcc_lo
	v_mov_b32_e32 v10, 0
	s_and_b32 s13, s12, 0x7ffffff8
	s_mov_b32 s19, 0
.LBB18_14:                              ; =>This Inner Loop Header: Depth=1
	v_dual_mov_b32 v4, v6 :: v_dual_add_nc_u32 v5, 0xfffffe80, v3
	global_load_b32 v27, v[1:2], off
	s_add_i32 s19, s19, 8
	v_lshlrev_b64 v[11:12], 2, v[5:6]
	v_lshlrev_b64 v[13:14], 2, v[3:4]
	v_add_nc_u32_e32 v5, 0xffffff40, v3
	s_delay_alu instid0(VALU_DEP_3) | instskip(NEXT) | instid1(VALU_DEP_4)
	v_add_co_u32 v11, vcc_lo, s15, v11
	v_add_co_ci_u32_e32 v12, vcc_lo, s18, v12, vcc_lo
	s_delay_alu instid0(VALU_DEP_4) | instskip(NEXT) | instid1(VALU_DEP_4)
	v_add_co_u32 v13, vcc_lo, s15, v13
	v_lshlrev_b64 v[15:16], 2, v[5:6]
	global_load_b32 v28, v[11:12], off
	v_add_co_ci_u32_e32 v14, vcc_lo, s18, v14, vcc_lo
	v_add_nc_u32_e32 v5, 0xffffffa0, v3
	global_load_b32 v31, v[13:14], off
	v_add_co_u32 v11, vcc_lo, s15, v15
	v_add_co_ci_u32_e32 v12, vcc_lo, s18, v16, vcc_lo
	v_lshlrev_b64 v[17:18], 2, v[5:6]
	v_add_nc_u32_e32 v5, 0x60, v3
	global_load_b32 v29, v[11:12], off
	v_lshlrev_b64 v[15:16], 2, v[5:6]
	v_add_co_u32 v17, vcc_lo, s15, v17
	v_add_co_ci_u32_e32 v18, vcc_lo, s18, v18, vcc_lo
	v_add_nc_u32_e32 v5, 0xc0, v3
	s_delay_alu instid0(VALU_DEP_4)
	v_add_co_u32 v15, vcc_lo, s15, v15
	v_add_co_ci_u32_e32 v16, vcc_lo, s18, v16, vcc_lo
	s_clause 0x1
	global_load_b32 v30, v[17:18], off
	global_load_b32 v32, v[15:16], off
	v_lshlrev_b64 v[11:12], 2, v[5:6]
	v_add_nc_u32_e32 v5, 0x120, v3
	v_add_nc_u32_e32 v3, 0x300, v3
	s_delay_alu instid0(VALU_DEP_2) | instskip(NEXT) | instid1(VALU_DEP_4)
	v_lshlrev_b64 v[4:5], 2, v[5:6]
	v_add_co_u32 v11, vcc_lo, s15, v11
	v_add_co_ci_u32_e32 v12, vcc_lo, s18, v12, vcc_lo
	s_delay_alu instid0(VALU_DEP_3) | instskip(NEXT) | instid1(VALU_DEP_4)
	v_add_co_u32 v4, vcc_lo, s15, v4
	v_add_co_ci_u32_e32 v5, vcc_lo, s18, v5, vcc_lo
	s_clause 0x1
	global_load_b32 v33, v[11:12], off
	global_load_b32 v4, v[4:5], off
	v_mov_b32_e32 v5, s14
	ds_load_2addr_b64 v[11:14], v5 offset1:1
	ds_load_2addr_b64 v[15:18], v5 offset0:2 offset1:3
	ds_load_2addr_b64 v[19:22], v5 offset0:4 offset1:5
	;; [unrolled: 1-line block ×3, first 2 shown]
	s_add_i32 s14, s14, 64
	s_cmp_eq_u32 s13, s19
	s_waitcnt lgkmcnt(3)
	v_sub_f32_e32 v5, v11, v8
	v_sub_f32_e32 v11, v13, v8
	s_waitcnt lgkmcnt(2)
	v_sub_f32_e32 v13, v15, v8
	v_sub_f32_e32 v15, v17, v8
	;; [unrolled: 3-line block ×3, first 2 shown]
	s_waitcnt lgkmcnt(0)
	v_sub_f32_e32 v21, v23, v8
	s_delay_alu instid0(VALU_DEP_2) | instskip(SKIP_2) | instid1(VALU_DEP_3)
	v_dual_sub_f32 v23, v25, v8 :: v_dual_mul_f32 v38, 0x3fb8aa3b, v19
	v_mul_f32_e32 v34, 0x3fb8aa3b, v11
	v_cmp_ngt_f32_e32 vcc_lo, 0xc2ce8ed0, v11
	v_fma_f32 v51, 0x3fb8aa3b, v19, -v38
	s_delay_alu instid0(VALU_DEP_3) | instskip(SKIP_2) | instid1(VALU_DEP_4)
	v_fma_f32 v43, 0x3fb8aa3b, v11, -v34
	v_rndne_f32_e32 v44, v34
	v_rndne_f32_e32 v52, v38
	v_fmac_f32_e32 v51, 0x32a5705f, v19
	s_delay_alu instid0(VALU_DEP_3) | instskip(SKIP_1) | instid1(VALU_DEP_4)
	v_dual_fmac_f32 v43, 0x32a5705f, v11 :: v_dual_sub_f32 v34, v34, v44
	v_cvt_i32_f32_e32 v44, v44
	v_sub_f32_e32 v38, v38, v52
	v_cvt_i32_f32_e32 v52, v52
	s_delay_alu instid0(VALU_DEP_4) | instskip(SKIP_3) | instid1(VALU_DEP_4)
	v_add_f32_e32 v34, v34, v43
	v_dual_mul_f32 v36, 0x3fb8aa3b, v15 :: v_dual_mul_f32 v25, 0x3fb8aa3b, v5
	v_cmp_ngt_f32_e64 s6, 0xc2ce8ed0, v5
	v_cmp_ngt_f32_e64 s1, 0xc2ce8ed0, v15
	v_exp_f32_e32 v34, v34
	s_delay_alu instid0(VALU_DEP_3)
	v_fma_f32 v47, 0x3fb8aa3b, v15, -v36
	v_fma_f32 v41, 0x3fb8aa3b, v5, -v25
	v_rndne_f32_e32 v42, v25
	v_rndne_f32_e32 v48, v36
	v_add_f32_e32 v38, v38, v51
	v_fmac_f32_e32 v47, 0x32a5705f, v15
	v_fmac_f32_e32 v41, 0x32a5705f, v5
	v_sub_f32_e32 v25, v25, v42
	v_cvt_i32_f32_e32 v42, v42
	v_ldexp_f32 v34, v34, v44
	v_sub_f32_e32 v36, v36, v48
	v_cvt_i32_f32_e32 v48, v48
	v_add_f32_e32 v25, v25, v41
	v_exp_f32_e32 v38, v38
	v_cndmask_b32_e32 v34, 0, v34, vcc_lo
	v_cmp_nlt_f32_e32 vcc_lo, 0x42b17218, v5
	v_add_f32_e32 v36, v36, v47
	v_exp_f32_e32 v25, v25
	v_cmp_ngt_f32_e64 s2, 0xc2ce8ed0, v17
	v_cmp_ngt_f32_e64 s3, 0xc2ce8ed0, v19
	s_delay_alu instid0(VALU_DEP_3) | instskip(NEXT) | instid1(TRANS32_DEP_3)
	v_exp_f32_e32 v36, v36
	v_ldexp_f32 v38, v38, v52
	s_waitcnt_depctr 0xfff
	v_ldexp_f32 v25, v25, v42
	v_cndmask_b32_e64 v38, 0, v38, s3
	v_ldexp_f32 v36, v36, v48
	s_delay_alu instid0(VALU_DEP_3) | instskip(NEXT) | instid1(VALU_DEP_2)
	v_cndmask_b32_e64 v25, 0, v25, s6
	v_cndmask_b32_e64 v36, 0, v36, s1
	s_delay_alu instid0(VALU_DEP_2) | instskip(SKIP_1) | instid1(VALU_DEP_2)
	v_cndmask_b32_e32 v5, 0x7f800000, v25, vcc_lo
	v_cmp_nlt_f32_e32 vcc_lo, 0x42b17218, v11
	v_dual_fmac_f32 v10, v5, v12 :: v_dual_cndmask_b32 v11, 0x7f800000, v34
	s_delay_alu instid0(VALU_DEP_1) | instskip(SKIP_4) | instid1(VALU_DEP_4)
	v_fmac_f32_e32 v10, v11, v14
	v_dual_mul_f32 v40, 0x3fb8aa3b, v23 :: v_dual_mul_f32 v35, 0x3fb8aa3b, v13
	v_cmp_ngt_f32_e64 s0, 0xc2ce8ed0, v13
	v_cmp_nlt_f32_e32 vcc_lo, 0x42b17218, v13
	v_cmp_ngt_f32_e64 s5, 0xc2ce8ed0, v23
	v_fma_f32 v55, 0x3fb8aa3b, v23, -v40
	v_fma_f32 v45, 0x3fb8aa3b, v13, -v35
	v_rndne_f32_e32 v46, v35
	v_rndne_f32_e32 v56, v40
	s_delay_alu instid0(VALU_DEP_4) | instskip(NEXT) | instid1(VALU_DEP_4)
	v_fmac_f32_e32 v55, 0x32a5705f, v23
	v_fmac_f32_e32 v45, 0x32a5705f, v13
	s_delay_alu instid0(VALU_DEP_4) | instskip(SKIP_3) | instid1(VALU_DEP_2)
	v_sub_f32_e32 v35, v35, v46
	v_cvt_i32_f32_e32 v46, v46
	v_sub_f32_e32 v40, v40, v56
	v_cvt_i32_f32_e32 v56, v56
	v_dual_add_f32 v35, v35, v45 :: v_dual_add_f32 v40, v40, v55
	v_cmp_ngt_f32_e64 s4, 0xc2ce8ed0, v21
	s_delay_alu instid0(VALU_DEP_2) | instskip(NEXT) | instid1(VALU_DEP_2)
	v_exp_f32_e32 v35, v35
	v_exp_f32_e32 v40, v40
	s_waitcnt_depctr 0xfff
	v_ldexp_f32 v35, v35, v46
	v_ldexp_f32 v40, v40, v56
	s_delay_alu instid0(VALU_DEP_2) | instskip(SKIP_1) | instid1(VALU_DEP_3)
	v_cndmask_b32_e64 v35, 0, v35, s0
	v_cmp_nlt_f32_e64 s0, 0x42b17218, v23
	v_cndmask_b32_e64 v40, 0, v40, s5
	s_waitcnt vmcnt(6)
	v_fmac_f32_e32 v9, v28, v5
	v_cndmask_b32_e32 v5, 0x7f800000, v35, vcc_lo
	v_cmp_nlt_f32_e32 vcc_lo, 0x42b17218, v15
	s_delay_alu instid0(VALU_DEP_2) | instskip(SKIP_3) | instid1(VALU_DEP_3)
	v_dual_fmac_f32 v9, v27, v11 :: v_dual_fmac_f32 v10, v5, v16
	v_cndmask_b32_e32 v11, 0x7f800000, v36, vcc_lo
	v_mul_f32_e32 v37, 0x3fb8aa3b, v17
	v_cmp_nlt_f32_e32 vcc_lo, 0x42b17218, v17
	v_fmac_f32_e32 v10, v11, v18
	s_delay_alu instid0(VALU_DEP_3) | instskip(SKIP_3) | instid1(VALU_DEP_3)
	v_fma_f32 v49, 0x3fb8aa3b, v17, -v37
	v_rndne_f32_e32 v50, v37
	s_waitcnt vmcnt(4)
	v_fmac_f32_e32 v9, v29, v5
	v_fmac_f32_e32 v49, 0x32a5705f, v17
	s_delay_alu instid0(VALU_DEP_3) | instskip(SKIP_1) | instid1(VALU_DEP_2)
	v_sub_f32_e32 v37, v37, v50
	v_cvt_i32_f32_e32 v50, v50
	v_add_f32_e32 v37, v37, v49
	s_waitcnt vmcnt(3)
	v_fmac_f32_e32 v9, v30, v11
	s_delay_alu instid0(VALU_DEP_2) | instskip(SKIP_2) | instid1(VALU_DEP_1)
	v_exp_f32_e32 v37, v37
	s_waitcnt_depctr 0xfff
	v_ldexp_f32 v37, v37, v50
	v_cndmask_b32_e64 v37, 0, v37, s2
	s_delay_alu instid0(VALU_DEP_1) | instskip(SKIP_2) | instid1(VALU_DEP_3)
	v_cndmask_b32_e32 v5, 0x7f800000, v37, vcc_lo
	v_mul_f32_e32 v39, 0x3fb8aa3b, v21
	v_cmp_nlt_f32_e32 vcc_lo, 0x42b17218, v19
	v_fmac_f32_e32 v10, v5, v20
	s_delay_alu instid0(VALU_DEP_3)
	v_fma_f32 v53, 0x3fb8aa3b, v21, -v39
	v_rndne_f32_e32 v54, v39
	v_cndmask_b32_e32 v11, 0x7f800000, v38, vcc_lo
	v_fmac_f32_e32 v9, v31, v5
	v_cmp_nlt_f32_e32 vcc_lo, 0x42b17218, v21
	v_fmac_f32_e32 v53, 0x32a5705f, v21
	v_sub_f32_e32 v39, v39, v54
	v_cvt_i32_f32_e32 v54, v54
	s_waitcnt vmcnt(2)
	v_dual_fmac_f32 v10, v11, v22 :: v_dual_fmac_f32 v9, v32, v11
	v_cndmask_b32_e64 v11, 0x7f800000, v40, s0
	v_add_f32_e32 v39, v39, v53
	s_delay_alu instid0(VALU_DEP_1) | instskip(SKIP_2) | instid1(VALU_DEP_1)
	v_exp_f32_e32 v39, v39
	s_waitcnt_depctr 0xfff
	v_ldexp_f32 v39, v39, v54
	v_cndmask_b32_e64 v39, 0, v39, s4
	s_delay_alu instid0(VALU_DEP_1) | instskip(SKIP_2) | instid1(VALU_DEP_3)
	v_cndmask_b32_e32 v5, 0x7f800000, v39, vcc_lo
	v_add_co_u32 v1, vcc_lo, 0xc00, v1
	v_add_co_ci_u32_e32 v2, vcc_lo, 0, v2, vcc_lo
	v_fmac_f32_e32 v10, v5, v24
	s_waitcnt vmcnt(1)
	s_delay_alu instid0(VALU_DEP_1) | instskip(SKIP_1) | instid1(VALU_DEP_1)
	v_dual_fmac_f32 v9, v33, v5 :: v_dual_fmac_f32 v10, v11, v26
	s_waitcnt vmcnt(0)
	v_fmac_f32_e32 v9, v4, v11
	s_cbranch_scc0 .LBB18_14
; %bb.15:
	s_and_b32 s1, s12, 7
	s_delay_alu instid0(SALU_CYCLE_1)
	s_cmp_eq_u32 s1, 0
	s_cbranch_scc0 .LBB18_18
	s_branch .LBB18_20
.LBB18_16:
	v_mov_b32_e32 v0, 0x7fc00000
	s_branch .LBB18_21
.LBB18_17:
	v_mov_b32_e32 v10, 0
	s_mov_b32 s13, 0
	s_and_b32 s1, s12, 7
	s_delay_alu instid0(SALU_CYCLE_1)
	s_cmp_eq_u32 s1, 0
	s_cbranch_scc1 .LBB18_20
.LBB18_18:
	v_mad_u64_u32 v[1:2], null, 0x60, s13, v[0:1]
	v_mov_b32_e32 v2, 0
	s_lshl_b64 s[2:3], s[10:11], 2
	s_delay_alu instid0(SALU_CYCLE_1) | instskip(SKIP_1) | instid1(VALU_DEP_1)
	s_add_u32 s0, s8, s2
	s_addc_u32 s2, s9, s3
	v_lshlrev_b64 v[0:1], 2, v[1:2]
	s_delay_alu instid0(VALU_DEP_1) | instskip(NEXT) | instid1(VALU_DEP_2)
	v_add_co_u32 v0, vcc_lo, s0, v0
	v_add_co_ci_u32_e32 v1, vcc_lo, s2, v1, vcc_lo
	s_lshl_b32 s0, s13, 3
	s_delay_alu instid0(SALU_CYCLE_1)
	s_add_i32 s2, s0, 0
	s_set_inst_prefetch_distance 0x1
	.p2align	6
.LBB18_19:                              ; =>This Inner Loop Header: Depth=1
	global_load_b32 v4, v[0:1], off
	v_mov_b32_e32 v2, s2
	s_add_i32 s1, s1, -1
	s_add_i32 s2, s2, 8
	s_cmp_lg_u32 s1, 0
	ds_load_b64 v[2:3], v2
	s_waitcnt lgkmcnt(0)
	v_sub_f32_e32 v2, v2, v8
	s_delay_alu instid0(VALU_DEP_1) | instskip(NEXT) | instid1(VALU_DEP_1)
	v_mul_f32_e32 v5, 0x3fb8aa3b, v2
	v_fma_f32 v6, 0x3fb8aa3b, v2, -v5
	v_rndne_f32_e32 v11, v5
	s_delay_alu instid0(VALU_DEP_1) | instskip(NEXT) | instid1(VALU_DEP_1)
	v_dual_fmac_f32 v6, 0x32a5705f, v2 :: v_dual_sub_f32 v5, v5, v11
	v_add_f32_e32 v5, v5, v6
	v_cvt_i32_f32_e32 v6, v11
	v_cmp_ngt_f32_e32 vcc_lo, 0xc2ce8ed0, v2
	v_cmp_nlt_f32_e64 s0, 0x42b17218, v2
	s_delay_alu instid0(VALU_DEP_4) | instskip(SKIP_2) | instid1(VALU_DEP_1)
	v_exp_f32_e32 v5, v5
	s_waitcnt_depctr 0xfff
	v_ldexp_f32 v5, v5, v6
	v_cndmask_b32_e32 v5, 0, v5, vcc_lo
	v_add_co_u32 v0, vcc_lo, 0x180, v0
	v_add_co_ci_u32_e32 v1, vcc_lo, 0, v1, vcc_lo
	s_delay_alu instid0(VALU_DEP_3) | instskip(SKIP_1) | instid1(VALU_DEP_1)
	v_cndmask_b32_e64 v2, 0x7f800000, v5, s0
	s_waitcnt vmcnt(0)
	v_dual_fmac_f32 v10, v2, v3 :: v_dual_fmac_f32 v9, v4, v2
	s_cbranch_scc1 .LBB18_19
.LBB18_20:
	s_set_inst_prefetch_distance 0x2
	s_delay_alu instid0(VALU_DEP_1) | instskip(NEXT) | instid1(VALU_DEP_1)
	v_div_scale_f32 v0, null, v10, v10, v9
	v_rcp_f32_e32 v1, v0
	s_waitcnt_depctr 0xfff
	v_fma_f32 v2, -v0, v1, 1.0
	s_delay_alu instid0(VALU_DEP_1) | instskip(SKIP_1) | instid1(VALU_DEP_1)
	v_fmac_f32_e32 v1, v2, v1
	v_div_scale_f32 v2, vcc_lo, v9, v10, v9
	v_mul_f32_e32 v3, v2, v1
	s_delay_alu instid0(VALU_DEP_1) | instskip(NEXT) | instid1(VALU_DEP_1)
	v_fma_f32 v4, -v0, v3, v2
	v_fmac_f32_e32 v3, v4, v1
	s_delay_alu instid0(VALU_DEP_1) | instskip(NEXT) | instid1(VALU_DEP_1)
	v_fma_f32 v0, -v0, v3, v2
	v_div_fmas_f32 v0, v0, v1, v3
	s_delay_alu instid0(VALU_DEP_1)
	v_div_fixup_f32 v0, v0, v10, v9
.LBB18_21:
	s_mul_i32 s0, s7, 0x60
	s_delay_alu instid0(SALU_CYCLE_1) | instskip(NEXT) | instid1(SALU_CYCLE_1)
	s_ashr_i32 s1, s0, 31
	s_lshl_b64 s[0:1], s[0:1], 2
	s_delay_alu instid0(SALU_CYCLE_1)
	s_add_u32 s0, s16, s0
	s_addc_u32 s1, s17, s1
	global_store_b32 v7, v0, s[0:1]
	s_nop 0
	s_sendmsg sendmsg(MSG_DEALLOC_VGPRS)
	s_endpgm
	.section	.rodata,"a",@progbits
	.p2align	6, 0x0
	.amdhsa_kernel _ZL26flash_attn_combine_resultsILi96EEvPKfPK15HIP_vector_typeIfLj2EEPfi
		.amdhsa_group_segment_fixed_size 0
		.amdhsa_private_segment_fixed_size 0
		.amdhsa_kernarg_size 288
		.amdhsa_user_sgpr_count 13
		.amdhsa_user_sgpr_dispatch_ptr 0
		.amdhsa_user_sgpr_queue_ptr 0
		.amdhsa_user_sgpr_kernarg_segment_ptr 1
		.amdhsa_user_sgpr_dispatch_id 0
		.amdhsa_user_sgpr_private_segment_size 0
		.amdhsa_wavefront_size32 1
		.amdhsa_uses_dynamic_stack 0
		.amdhsa_enable_private_segment 0
		.amdhsa_system_sgpr_workgroup_id_x 1
		.amdhsa_system_sgpr_workgroup_id_y 1
		.amdhsa_system_sgpr_workgroup_id_z 1
		.amdhsa_system_sgpr_workgroup_info 0
		.amdhsa_system_vgpr_workitem_id 0
		.amdhsa_next_free_vgpr 57
		.amdhsa_next_free_sgpr 20
		.amdhsa_reserve_vcc 1
		.amdhsa_float_round_mode_32 0
		.amdhsa_float_round_mode_16_64 0
		.amdhsa_float_denorm_mode_32 3
		.amdhsa_float_denorm_mode_16_64 3
		.amdhsa_dx10_clamp 1
		.amdhsa_ieee_mode 1
		.amdhsa_fp16_overflow 0
		.amdhsa_workgroup_processor_mode 1
		.amdhsa_memory_ordered 1
		.amdhsa_forward_progress 0
		.amdhsa_shared_vgpr_count 0
		.amdhsa_exception_fp_ieee_invalid_op 0
		.amdhsa_exception_fp_denorm_src 0
		.amdhsa_exception_fp_ieee_div_zero 0
		.amdhsa_exception_fp_ieee_overflow 0
		.amdhsa_exception_fp_ieee_underflow 0
		.amdhsa_exception_fp_ieee_inexact 0
		.amdhsa_exception_int_div_zero 0
	.end_amdhsa_kernel
	.section	.text._ZL26flash_attn_combine_resultsILi96EEvPKfPK15HIP_vector_typeIfLj2EEPfi,"axG",@progbits,_ZL26flash_attn_combine_resultsILi96EEvPKfPK15HIP_vector_typeIfLj2EEPfi,comdat
.Lfunc_end18:
	.size	_ZL26flash_attn_combine_resultsILi96EEvPKfPK15HIP_vector_typeIfLj2EEPfi, .Lfunc_end18-_ZL26flash_attn_combine_resultsILi96EEvPKfPK15HIP_vector_typeIfLj2EEPfi
                                        ; -- End function
	.section	.AMDGPU.csdata,"",@progbits
; Kernel info:
; codeLenInByte = 2420
; NumSgprs: 22
; NumVgprs: 57
; ScratchSize: 0
; MemoryBound: 0
; FloatMode: 240
; IeeeMode: 1
; LDSByteSize: 0 bytes/workgroup (compile time only)
; SGPRBlocks: 2
; VGPRBlocks: 7
; NumSGPRsForWavesPerEU: 22
; NumVGPRsForWavesPerEU: 57
; Occupancy: 16
; WaveLimiterHint : 0
; COMPUTE_PGM_RSRC2:SCRATCH_EN: 0
; COMPUTE_PGM_RSRC2:USER_SGPR: 13
; COMPUTE_PGM_RSRC2:TRAP_HANDLER: 0
; COMPUTE_PGM_RSRC2:TGID_X_EN: 1
; COMPUTE_PGM_RSRC2:TGID_Y_EN: 1
; COMPUTE_PGM_RSRC2:TGID_Z_EN: 1
; COMPUTE_PGM_RSRC2:TIDIG_COMP_CNT: 0
	.section	.text._ZL18flash_attn_ext_f16ILi112ELi112ELi64ELi1ELb0ELb0EEvPKcS1_S1_S1_S1_PKiPfP15HIP_vector_typeIfLj2EEffffjfiS5_IjLj3EEiiiiiiiiiiiliiliiiiil,"axG",@progbits,_ZL18flash_attn_ext_f16ILi112ELi112ELi64ELi1ELb0ELb0EEvPKcS1_S1_S1_S1_PKiPfP15HIP_vector_typeIfLj2EEffffjfiS5_IjLj3EEiiiiiiiiiiiliiliiiiil,comdat
	.globl	_ZL18flash_attn_ext_f16ILi112ELi112ELi64ELi1ELb0ELb0EEvPKcS1_S1_S1_S1_PKiPfP15HIP_vector_typeIfLj2EEffffjfiS5_IjLj3EEiiiiiiiiiiiliiliiiiil ; -- Begin function _ZL18flash_attn_ext_f16ILi112ELi112ELi64ELi1ELb0ELb0EEvPKcS1_S1_S1_S1_PKiPfP15HIP_vector_typeIfLj2EEffffjfiS5_IjLj3EEiiiiiiiiiiiliiliiiiil
	.p2align	8
	.type	_ZL18flash_attn_ext_f16ILi112ELi112ELi64ELi1ELb0ELb0EEvPKcS1_S1_S1_S1_PKiPfP15HIP_vector_typeIfLj2EEffffjfiS5_IjLj3EEiiiiiiiiiiiliiliiiiil,@function
_ZL18flash_attn_ext_f16ILi112ELi112ELi64ELi1ELb0ELb0EEvPKcS1_S1_S1_S1_PKiPfP15HIP_vector_typeIfLj2EEffffjfiS5_IjLj3EEiiiiiiiiiiiliiliiiiil: ; @_ZL18flash_attn_ext_f16ILi112ELi112ELi64ELi1ELb0ELb0EEvPKcS1_S1_S1_S1_PKiPfP15HIP_vector_typeIfLj2EEffffjfiS5_IjLj3EEiiiiiiiiiiiliiliiiiil
; %bb.0:
	v_mov_b32_e32 v0, 0x6e3
	s_add_u32 s8, s0, 0xd0
	s_addc_u32 s9, s1, 0
	s_mov_b32 s32, 0
	s_getpc_b64 s[0:1]
	s_add_u32 s0, s0, _ZL14no_device_codePKciS0_iS0_@rel32@lo+4
	s_addc_u32 s1, s1, _ZL14no_device_codePKciS0_iS0_@rel32@hi+12
	s_delay_alu instid0(SALU_CYCLE_1)
	s_swappc_b64 s[30:31], s[0:1]
	.section	.rodata,"a",@progbits
	.p2align	6, 0x0
	.amdhsa_kernel _ZL18flash_attn_ext_f16ILi112ELi112ELi64ELi1ELb0ELb0EEvPKcS1_S1_S1_S1_PKiPfP15HIP_vector_typeIfLj2EEffffjfiS5_IjLj3EEiiiiiiiiiiiliiliiiiil
		.amdhsa_group_segment_fixed_size 0
		.amdhsa_private_segment_fixed_size 16
		.amdhsa_kernarg_size 464
		.amdhsa_user_sgpr_count 15
		.amdhsa_user_sgpr_dispatch_ptr 0
		.amdhsa_user_sgpr_queue_ptr 0
		.amdhsa_user_sgpr_kernarg_segment_ptr 1
		.amdhsa_user_sgpr_dispatch_id 0
		.amdhsa_user_sgpr_private_segment_size 0
		.amdhsa_wavefront_size32 1
		.amdhsa_uses_dynamic_stack 0
		.amdhsa_enable_private_segment 1
		.amdhsa_system_sgpr_workgroup_id_x 1
		.amdhsa_system_sgpr_workgroup_id_y 0
		.amdhsa_system_sgpr_workgroup_id_z 0
		.amdhsa_system_sgpr_workgroup_info 0
		.amdhsa_system_vgpr_workitem_id 0
		.amdhsa_next_free_vgpr 37
		.amdhsa_next_free_sgpr 34
		.amdhsa_reserve_vcc 1
		.amdhsa_float_round_mode_32 0
		.amdhsa_float_round_mode_16_64 0
		.amdhsa_float_denorm_mode_32 3
		.amdhsa_float_denorm_mode_16_64 3
		.amdhsa_dx10_clamp 1
		.amdhsa_ieee_mode 1
		.amdhsa_fp16_overflow 0
		.amdhsa_workgroup_processor_mode 1
		.amdhsa_memory_ordered 1
		.amdhsa_forward_progress 0
		.amdhsa_shared_vgpr_count 0
		.amdhsa_exception_fp_ieee_invalid_op 0
		.amdhsa_exception_fp_denorm_src 0
		.amdhsa_exception_fp_ieee_div_zero 0
		.amdhsa_exception_fp_ieee_overflow 0
		.amdhsa_exception_fp_ieee_underflow 0
		.amdhsa_exception_fp_ieee_inexact 0
		.amdhsa_exception_int_div_zero 0
	.end_amdhsa_kernel
	.section	.text._ZL18flash_attn_ext_f16ILi112ELi112ELi64ELi1ELb0ELb0EEvPKcS1_S1_S1_S1_PKiPfP15HIP_vector_typeIfLj2EEffffjfiS5_IjLj3EEiiiiiiiiiiiliiliiiiil,"axG",@progbits,_ZL18flash_attn_ext_f16ILi112ELi112ELi64ELi1ELb0ELb0EEvPKcS1_S1_S1_S1_PKiPfP15HIP_vector_typeIfLj2EEffffjfiS5_IjLj3EEiiiiiiiiiiiliiliiiiil,comdat
.Lfunc_end19:
	.size	_ZL18flash_attn_ext_f16ILi112ELi112ELi64ELi1ELb0ELb0EEvPKcS1_S1_S1_S1_PKiPfP15HIP_vector_typeIfLj2EEffffjfiS5_IjLj3EEiiiiiiiiiiiliiliiiiil, .Lfunc_end19-_ZL18flash_attn_ext_f16ILi112ELi112ELi64ELi1ELb0ELb0EEvPKcS1_S1_S1_S1_PKiPfP15HIP_vector_typeIfLj2EEffffjfiS5_IjLj3EEiiiiiiiiiiiliiliiiiil
                                        ; -- End function
	.section	.AMDGPU.csdata,"",@progbits
; Kernel info:
; codeLenInByte = 52
; NumSgprs: 36
; NumVgprs: 37
; ScratchSize: 16
; MemoryBound: 0
; FloatMode: 240
; IeeeMode: 1
; LDSByteSize: 0 bytes/workgroup (compile time only)
; SGPRBlocks: 4
; VGPRBlocks: 4
; NumSGPRsForWavesPerEU: 36
; NumVGPRsForWavesPerEU: 37
; Occupancy: 16
; WaveLimiterHint : 1
; COMPUTE_PGM_RSRC2:SCRATCH_EN: 1
; COMPUTE_PGM_RSRC2:USER_SGPR: 15
; COMPUTE_PGM_RSRC2:TRAP_HANDLER: 0
; COMPUTE_PGM_RSRC2:TGID_X_EN: 1
; COMPUTE_PGM_RSRC2:TGID_Y_EN: 0
; COMPUTE_PGM_RSRC2:TGID_Z_EN: 0
; COMPUTE_PGM_RSRC2:TIDIG_COMP_CNT: 0
	.section	.text._ZL18flash_attn_ext_f16ILi112ELi112ELi64ELi1ELb1ELb0EEvPKcS1_S1_S1_S1_PKiPfP15HIP_vector_typeIfLj2EEffffjfiS5_IjLj3EEiiiiiiiiiiiliiliiiiil,"axG",@progbits,_ZL18flash_attn_ext_f16ILi112ELi112ELi64ELi1ELb1ELb0EEvPKcS1_S1_S1_S1_PKiPfP15HIP_vector_typeIfLj2EEffffjfiS5_IjLj3EEiiiiiiiiiiiliiliiiiil,comdat
	.globl	_ZL18flash_attn_ext_f16ILi112ELi112ELi64ELi1ELb1ELb0EEvPKcS1_S1_S1_S1_PKiPfP15HIP_vector_typeIfLj2EEffffjfiS5_IjLj3EEiiiiiiiiiiiliiliiiiil ; -- Begin function _ZL18flash_attn_ext_f16ILi112ELi112ELi64ELi1ELb1ELb0EEvPKcS1_S1_S1_S1_PKiPfP15HIP_vector_typeIfLj2EEffffjfiS5_IjLj3EEiiiiiiiiiiiliiliiiiil
	.p2align	8
	.type	_ZL18flash_attn_ext_f16ILi112ELi112ELi64ELi1ELb1ELb0EEvPKcS1_S1_S1_S1_PKiPfP15HIP_vector_typeIfLj2EEffffjfiS5_IjLj3EEiiiiiiiiiiiliiliiiiil,@function
_ZL18flash_attn_ext_f16ILi112ELi112ELi64ELi1ELb1ELb0EEvPKcS1_S1_S1_S1_PKiPfP15HIP_vector_typeIfLj2EEffffjfiS5_IjLj3EEiiiiiiiiiiiliiliiiiil: ; @_ZL18flash_attn_ext_f16ILi112ELi112ELi64ELi1ELb1ELb0EEvPKcS1_S1_S1_S1_PKiPfP15HIP_vector_typeIfLj2EEffffjfiS5_IjLj3EEiiiiiiiiiiiliiliiiiil
; %bb.0:
	v_mov_b32_e32 v0, 0x6cc
	s_add_u32 s8, s0, 0xd0
	s_addc_u32 s9, s1, 0
	s_mov_b32 s32, 0
	s_getpc_b64 s[0:1]
	s_add_u32 s0, s0, _ZL14no_device_codePKciS0_iS0_@rel32@lo+4
	s_addc_u32 s1, s1, _ZL14no_device_codePKciS0_iS0_@rel32@hi+12
	s_delay_alu instid0(SALU_CYCLE_1)
	s_swappc_b64 s[30:31], s[0:1]
	.section	.rodata,"a",@progbits
	.p2align	6, 0x0
	.amdhsa_kernel _ZL18flash_attn_ext_f16ILi112ELi112ELi64ELi1ELb1ELb0EEvPKcS1_S1_S1_S1_PKiPfP15HIP_vector_typeIfLj2EEffffjfiS5_IjLj3EEiiiiiiiiiiiliiliiiiil
		.amdhsa_group_segment_fixed_size 0
		.amdhsa_private_segment_fixed_size 16
		.amdhsa_kernarg_size 464
		.amdhsa_user_sgpr_count 15
		.amdhsa_user_sgpr_dispatch_ptr 0
		.amdhsa_user_sgpr_queue_ptr 0
		.amdhsa_user_sgpr_kernarg_segment_ptr 1
		.amdhsa_user_sgpr_dispatch_id 0
		.amdhsa_user_sgpr_private_segment_size 0
		.amdhsa_wavefront_size32 1
		.amdhsa_uses_dynamic_stack 0
		.amdhsa_enable_private_segment 1
		.amdhsa_system_sgpr_workgroup_id_x 1
		.amdhsa_system_sgpr_workgroup_id_y 0
		.amdhsa_system_sgpr_workgroup_id_z 0
		.amdhsa_system_sgpr_workgroup_info 0
		.amdhsa_system_vgpr_workitem_id 0
		.amdhsa_next_free_vgpr 37
		.amdhsa_next_free_sgpr 34
		.amdhsa_reserve_vcc 1
		.amdhsa_float_round_mode_32 0
		.amdhsa_float_round_mode_16_64 0
		.amdhsa_float_denorm_mode_32 3
		.amdhsa_float_denorm_mode_16_64 3
		.amdhsa_dx10_clamp 1
		.amdhsa_ieee_mode 1
		.amdhsa_fp16_overflow 0
		.amdhsa_workgroup_processor_mode 1
		.amdhsa_memory_ordered 1
		.amdhsa_forward_progress 0
		.amdhsa_shared_vgpr_count 0
		.amdhsa_exception_fp_ieee_invalid_op 0
		.amdhsa_exception_fp_denorm_src 0
		.amdhsa_exception_fp_ieee_div_zero 0
		.amdhsa_exception_fp_ieee_overflow 0
		.amdhsa_exception_fp_ieee_underflow 0
		.amdhsa_exception_fp_ieee_inexact 0
		.amdhsa_exception_int_div_zero 0
	.end_amdhsa_kernel
	.section	.text._ZL18flash_attn_ext_f16ILi112ELi112ELi64ELi1ELb1ELb0EEvPKcS1_S1_S1_S1_PKiPfP15HIP_vector_typeIfLj2EEffffjfiS5_IjLj3EEiiiiiiiiiiiliiliiiiil,"axG",@progbits,_ZL18flash_attn_ext_f16ILi112ELi112ELi64ELi1ELb1ELb0EEvPKcS1_S1_S1_S1_PKiPfP15HIP_vector_typeIfLj2EEffffjfiS5_IjLj3EEiiiiiiiiiiiliiliiiiil,comdat
.Lfunc_end20:
	.size	_ZL18flash_attn_ext_f16ILi112ELi112ELi64ELi1ELb1ELb0EEvPKcS1_S1_S1_S1_PKiPfP15HIP_vector_typeIfLj2EEffffjfiS5_IjLj3EEiiiiiiiiiiiliiliiiiil, .Lfunc_end20-_ZL18flash_attn_ext_f16ILi112ELi112ELi64ELi1ELb1ELb0EEvPKcS1_S1_S1_S1_PKiPfP15HIP_vector_typeIfLj2EEffffjfiS5_IjLj3EEiiiiiiiiiiiliiliiiiil
                                        ; -- End function
	.section	.AMDGPU.csdata,"",@progbits
; Kernel info:
; codeLenInByte = 52
; NumSgprs: 36
; NumVgprs: 37
; ScratchSize: 16
; MemoryBound: 0
; FloatMode: 240
; IeeeMode: 1
; LDSByteSize: 0 bytes/workgroup (compile time only)
; SGPRBlocks: 4
; VGPRBlocks: 4
; NumSGPRsForWavesPerEU: 36
; NumVGPRsForWavesPerEU: 37
; Occupancy: 16
; WaveLimiterHint : 1
; COMPUTE_PGM_RSRC2:SCRATCH_EN: 1
; COMPUTE_PGM_RSRC2:USER_SGPR: 15
; COMPUTE_PGM_RSRC2:TRAP_HANDLER: 0
; COMPUTE_PGM_RSRC2:TGID_X_EN: 1
; COMPUTE_PGM_RSRC2:TGID_Y_EN: 0
; COMPUTE_PGM_RSRC2:TGID_Z_EN: 0
; COMPUTE_PGM_RSRC2:TIDIG_COMP_CNT: 0
	.section	.text._ZL33flash_attn_stream_k_fixup_uniformILi112ELi64ELi1EEvPfPK15HIP_vector_typeIfLj2EEiiiiiiS1_IjLj3EES5_S5_,"axG",@progbits,_ZL33flash_attn_stream_k_fixup_uniformILi112ELi64ELi1EEvPfPK15HIP_vector_typeIfLj2EEiiiiiiS1_IjLj3EES5_S5_,comdat
	.globl	_ZL33flash_attn_stream_k_fixup_uniformILi112ELi64ELi1EEvPfPK15HIP_vector_typeIfLj2EEiiiiiiS1_IjLj3EES5_S5_ ; -- Begin function _ZL33flash_attn_stream_k_fixup_uniformILi112ELi64ELi1EEvPfPK15HIP_vector_typeIfLj2EEiiiiiiS1_IjLj3EES5_S5_
	.p2align	8
	.type	_ZL33flash_attn_stream_k_fixup_uniformILi112ELi64ELi1EEvPfPK15HIP_vector_typeIfLj2EEiiiiiiS1_IjLj3EES5_S5_,@function
_ZL33flash_attn_stream_k_fixup_uniformILi112ELi64ELi1EEvPfPK15HIP_vector_typeIfLj2EEiiiiiiS1_IjLj3EES5_S5_: ; @_ZL33flash_attn_stream_k_fixup_uniformILi112ELi64ELi1EEvPfPK15HIP_vector_typeIfLj2EEiiiiiiS1_IjLj3EES5_S5_
; %bb.0:
	s_clause 0x1
	s_load_b256 s[4:11], s[0:1], 0x1c
	s_load_b128 s[16:19], s[0:1], 0x3c
	s_waitcnt lgkmcnt(0)
	s_mul_hi_u32 s2, s7, s13
	s_delay_alu instid0(SALU_CYCLE_1) | instskip(NEXT) | instid1(SALU_CYCLE_1)
	s_add_i32 s2, s13, s2
	s_lshr_b32 s7, s2, s8
	s_delay_alu instid0(SALU_CYCLE_1) | instskip(NEXT) | instid1(SALU_CYCLE_1)
	s_mul_i32 s2, s7, s9
	s_sub_i32 s9, s13, s2
	s_delay_alu instid0(SALU_CYCLE_1) | instskip(NEXT) | instid1(SALU_CYCLE_1)
	s_mul_hi_u32 s2, s9, s10
	s_add_i32 s8, s9, s2
	s_load_b64 s[2:3], s[0:1], 0x10
	s_lshr_b32 s8, s8, s11
	s_delay_alu instid0(SALU_CYCLE_1) | instskip(NEXT) | instid1(SALU_CYCLE_1)
	s_mul_i32 s10, s8, s16
	s_sub_i32 s9, s9, s10
	s_delay_alu instid0(SALU_CYCLE_1) | instskip(NEXT) | instid1(SALU_CYCLE_1)
	s_mul_hi_u32 s10, s9, s17
	s_add_i32 s10, s9, s10
	s_delay_alu instid0(SALU_CYCLE_1) | instskip(NEXT) | instid1(SALU_CYCLE_1)
	s_lshr_b32 s11, s10, s18
	s_mul_i32 s10, s11, s19
	s_delay_alu instid0(SALU_CYCLE_1) | instskip(NEXT) | instid1(SALU_CYCLE_1)
	s_sub_i32 s10, s9, s10
	s_lshl_b32 s9, s10, 6
	s_delay_alu instid0(SALU_CYCLE_1) | instskip(SKIP_4) | instid1(SALU_CYCLE_1)
	s_add_i32 s9, s9, s14
	s_waitcnt lgkmcnt(0)
	s_cmp_lt_i32 s9, s2
	s_cselect_b32 s12, -1, 0
	s_add_i32 s9, s11, s15
	s_cmp_lt_i32 s9, s5
	s_cselect_b32 s11, -1, 0
	s_delay_alu instid0(SALU_CYCLE_1) | instskip(NEXT) | instid1(SALU_CYCLE_1)
	s_and_b32 s11, s12, s11
	s_and_not1_b32 vcc_lo, exec_lo, s11
	s_cbranch_vccnz .LBB21_6
; %bb.1:
	s_mul_i32 s8, s8, s5
	s_mul_i32 s5, s3, s10
	;; [unrolled: 1-line block ×3, first 2 shown]
	s_mulk_i32 s5, 0x1c00
	s_add_i32 s2, s2, s14
	v_or_b32_e32 v1, s5, v0
	s_mul_i32 s7, s2, s3
	s_add_i32 s5, s9, s8
	s_load_b128 s[0:3], s[0:1], 0x0
	s_add_i32 s5, s5, s7
	s_add_i32 s10, s14, s15
	v_mad_u64_u32 v[2:3], null, 0x70, s5, v[1:2]
	s_mul_i32 s5, s13, s6
	s_delay_alu instid0(SALU_CYCLE_1) | instskip(NEXT) | instid1(VALU_DEP_1)
	s_add_i32 s9, s5, s6
	v_ashrrev_i32_e32 v3, 31, v2
	s_delay_alu instid0(VALU_DEP_1) | instskip(SKIP_1) | instid1(VALU_DEP_1)
	v_lshlrev_b64 v[1:2], 2, v[2:3]
	s_waitcnt lgkmcnt(0)
	v_add_co_u32 v1, vcc_lo, s0, v1
	s_delay_alu instid0(VALU_DEP_2) | instskip(SKIP_1) | instid1(SALU_CYCLE_1)
	v_add_co_ci_u32_e32 v2, vcc_lo, s1, v2, vcc_lo
	s_lshl_b32 s0, s9, 6
	s_add_i32 s0, s10, s0
	global_load_b32 v5, v[1:2], off
	s_sub_i32 s0, s0, 64
	s_delay_alu instid0(SALU_CYCLE_1) | instskip(NEXT) | instid1(SALU_CYCLE_1)
	s_ashr_i32 s1, s0, 31
	s_lshl_b64 s[0:1], s[0:1], 3
	s_delay_alu instid0(SALU_CYCLE_1)
	s_add_u32 s0, s2, s0
	s_addc_u32 s1, s3, s1
	s_add_i32 s7, s9, -2
	s_load_b32 s11, s[0:1], 0x4
	s_cmp_lt_i32 s7, s5
	s_cbranch_scc1 .LBB21_4
; %bb.2:
	s_load_b32 s12, s[0:1], 0x0
	s_lshl_b32 s0, s4, 8
	s_waitcnt lgkmcnt(0)
	v_mov_b32_e32 v6, s11
	s_ashr_i32 s1, s0, 31
	s_delay_alu instid0(SALU_CYCLE_1) | instskip(NEXT) | instid1(SALU_CYCLE_1)
	s_lshl_b64 s[0:1], s[0:1], 2
	s_add_u32 s7, s2, s0
	s_addc_u32 s8, s3, s1
	s_add_i32 s13, s13, 1
	s_mul_i32 s1, s10, 0x70
	s_mul_i32 s0, s6, s13
	s_delay_alu instid0(SALU_CYCLE_1)
	s_lshl_b32 s6, s0, 6
	s_mulk_i32 s0, 0x1c00
	s_add_i32 s6, s10, s6
	s_add_i32 s1, s1, s0
	s_lshl_b32 s0, s4, 6
	v_add3_u32 v3, s1, v0, 0xffffc800
	s_add_i32 s0, s6, s0
	v_mov_b32_e32 v0, s12
	s_add_i32 s4, s9, -1
	s_addk_i32 s0, 0xff80
.LBB21_3:                               ; =>This Inner Loop Header: Depth=1
	s_delay_alu instid0(VALU_DEP_2) | instskip(SKIP_1) | instid1(SALU_CYCLE_1)
	v_ashrrev_i32_e32 v4, 31, v3
	s_ashr_i32 s1, s0, 31
	s_lshl_b64 s[10:11], s[0:1], 3
	s_delay_alu instid0(SALU_CYCLE_1) | instskip(NEXT) | instid1(VALU_DEP_1)
	s_add_u32 s10, s2, s10
	v_lshlrev_b64 v[7:8], 2, v[3:4]
	s_addc_u32 s11, s3, s11
	s_add_i32 s4, s4, -1
	s_sub_i32 s0, s0, 64
	s_cmp_le_i32 s4, s5
	s_load_b64 s[10:11], s[10:11], 0x0
	v_add_co_u32 v7, vcc_lo, s7, v7
	v_add_co_ci_u32_e32 v8, vcc_lo, s8, v8, vcc_lo
	global_load_b32 v4, v[7:8], off
	v_max_f32_e32 v7, v0, v0
	s_waitcnt lgkmcnt(0)
	v_max_f32_e64 v8, s10, s10
	s_delay_alu instid0(VALU_DEP_1) | instskip(NEXT) | instid1(VALU_DEP_1)
	v_max_f32_e32 v7, v7, v8
	v_sub_f32_e32 v8, s10, v7
	s_delay_alu instid0(VALU_DEP_1) | instskip(NEXT) | instid1(VALU_DEP_1)
	v_dual_sub_f32 v0, v0, v7 :: v_dual_mul_f32 v9, 0x3fb8aa3b, v8
	v_fma_f32 v10, 0x3fb8aa3b, v8, -v9
	v_rndne_f32_e32 v11, v9
	s_delay_alu instid0(VALU_DEP_3) | instskip(NEXT) | instid1(VALU_DEP_2)
	v_mul_f32_e32 v12, 0x3fb8aa3b, v0
	v_dual_fmac_f32 v10, 0x32a5705f, v8 :: v_dual_sub_f32 v9, v9, v11
	v_cvt_i32_f32_e32 v11, v11
	s_delay_alu instid0(VALU_DEP_3) | instskip(SKIP_1) | instid1(VALU_DEP_4)
	v_fma_f32 v13, 0x3fb8aa3b, v0, -v12
	v_rndne_f32_e32 v14, v12
	v_add_f32_e32 v9, v9, v10
	v_cmp_ngt_f32_e32 vcc_lo, 0xc2ce8ed0, v8
	s_delay_alu instid0(VALU_DEP_3) | instskip(NEXT) | instid1(VALU_DEP_3)
	v_sub_f32_e32 v10, v12, v14
	v_exp_f32_e32 v9, v9
	s_waitcnt_depctr 0xfff
	v_ldexp_f32 v9, v9, v11
	v_cvt_i32_f32_e32 v11, v14
	s_delay_alu instid0(VALU_DEP_2) | instskip(SKIP_1) | instid1(VALU_DEP_2)
	v_cndmask_b32_e32 v9, 0, v9, vcc_lo
	v_cmp_nlt_f32_e32 vcc_lo, 0x42b17218, v8
	v_cndmask_b32_e32 v9, 0x7f800000, v9, vcc_lo
	v_cmp_ngt_f32_e32 vcc_lo, 0xc2ce8ed0, v0
	v_fmac_f32_e32 v13, 0x32a5705f, v0
	s_delay_alu instid0(VALU_DEP_1) | instskip(NEXT) | instid1(VALU_DEP_1)
	v_add_f32_e32 v10, v10, v13
	v_exp_f32_e32 v10, v10
	s_waitcnt_depctr 0xfff
	v_ldexp_f32 v10, v10, v11
	s_delay_alu instid0(VALU_DEP_1)
	v_dual_mov_b32 v11, v6 :: v_dual_cndmask_b32 v10, 0, v10
	v_cmp_le_f32_e32 vcc_lo, 0xc1a00000, v8
	s_waitcnt vmcnt(1)
	v_dual_cndmask_b32 v8, 0, v9 :: v_dual_mov_b32 v9, v5
	v_cmp_nlt_f32_e32 vcc_lo, 0x42b17218, v0
	v_cndmask_b32_e32 v5, 0x7f800000, v10, vcc_lo
	s_delay_alu instid0(VALU_DEP_3) | instskip(SKIP_2) | instid1(VALU_DEP_3)
	v_mul_f32_e32 v10, s11, v8
	v_cmp_le_f32_e32 vcc_lo, 0xc1a00000, v0
	v_mov_b32_e32 v0, v7
	v_mov_b32_e32 v6, v10
	s_waitcnt vmcnt(0)
	v_dual_cndmask_b32 v12, 0, v5 :: v_dual_mul_f32 v5, v4, v8
	s_delay_alu instid0(VALU_DEP_1) | instskip(NEXT) | instid1(VALU_DEP_2)
	v_dual_fmac_f32 v6, v11, v12 :: v_dual_add_nc_u32 v3, 0xffffe400, v3
	v_fmac_f32_e32 v5, v9, v12
	s_cbranch_scc0 .LBB21_3
	s_branch .LBB21_5
.LBB21_4:
	s_waitcnt lgkmcnt(0)
	v_mov_b32_e32 v6, s11
.LBB21_5:
	s_waitcnt vmcnt(0)
	s_delay_alu instid0(VALU_DEP_1) | instskip(NEXT) | instid1(VALU_DEP_1)
	v_div_scale_f32 v0, null, v6, v6, v5
	v_rcp_f32_e32 v3, v0
	s_waitcnt_depctr 0xfff
	v_fma_f32 v4, -v0, v3, 1.0
	s_delay_alu instid0(VALU_DEP_1) | instskip(SKIP_1) | instid1(VALU_DEP_1)
	v_fmac_f32_e32 v3, v4, v3
	v_div_scale_f32 v4, vcc_lo, v5, v6, v5
	v_mul_f32_e32 v7, v4, v3
	s_delay_alu instid0(VALU_DEP_1) | instskip(NEXT) | instid1(VALU_DEP_1)
	v_fma_f32 v8, -v0, v7, v4
	v_fmac_f32_e32 v7, v8, v3
	s_delay_alu instid0(VALU_DEP_1) | instskip(NEXT) | instid1(VALU_DEP_1)
	v_fma_f32 v0, -v0, v7, v4
	v_div_fmas_f32 v0, v0, v3, v7
	s_delay_alu instid0(VALU_DEP_1)
	v_div_fixup_f32 v0, v0, v6, v5
	global_store_b32 v[1:2], v0, off
.LBB21_6:
	s_nop 0
	s_sendmsg sendmsg(MSG_DEALLOC_VGPRS)
	s_endpgm
	.section	.rodata,"a",@progbits
	.p2align	6, 0x0
	.amdhsa_kernel _ZL33flash_attn_stream_k_fixup_uniformILi112ELi64ELi1EEvPfPK15HIP_vector_typeIfLj2EEiiiiiiS1_IjLj3EES5_S5_
		.amdhsa_group_segment_fixed_size 0
		.amdhsa_private_segment_fixed_size 0
		.amdhsa_kernarg_size 76
		.amdhsa_user_sgpr_count 13
		.amdhsa_user_sgpr_dispatch_ptr 0
		.amdhsa_user_sgpr_queue_ptr 0
		.amdhsa_user_sgpr_kernarg_segment_ptr 1
		.amdhsa_user_sgpr_dispatch_id 0
		.amdhsa_user_sgpr_private_segment_size 0
		.amdhsa_wavefront_size32 1
		.amdhsa_uses_dynamic_stack 0
		.amdhsa_enable_private_segment 0
		.amdhsa_system_sgpr_workgroup_id_x 1
		.amdhsa_system_sgpr_workgroup_id_y 1
		.amdhsa_system_sgpr_workgroup_id_z 1
		.amdhsa_system_sgpr_workgroup_info 0
		.amdhsa_system_vgpr_workitem_id 0
		.amdhsa_next_free_vgpr 15
		.amdhsa_next_free_sgpr 20
		.amdhsa_reserve_vcc 1
		.amdhsa_float_round_mode_32 0
		.amdhsa_float_round_mode_16_64 0
		.amdhsa_float_denorm_mode_32 3
		.amdhsa_float_denorm_mode_16_64 3
		.amdhsa_dx10_clamp 1
		.amdhsa_ieee_mode 1
		.amdhsa_fp16_overflow 0
		.amdhsa_workgroup_processor_mode 1
		.amdhsa_memory_ordered 1
		.amdhsa_forward_progress 0
		.amdhsa_shared_vgpr_count 0
		.amdhsa_exception_fp_ieee_invalid_op 0
		.amdhsa_exception_fp_denorm_src 0
		.amdhsa_exception_fp_ieee_div_zero 0
		.amdhsa_exception_fp_ieee_overflow 0
		.amdhsa_exception_fp_ieee_underflow 0
		.amdhsa_exception_fp_ieee_inexact 0
		.amdhsa_exception_int_div_zero 0
	.end_amdhsa_kernel
	.section	.text._ZL33flash_attn_stream_k_fixup_uniformILi112ELi64ELi1EEvPfPK15HIP_vector_typeIfLj2EEiiiiiiS1_IjLj3EES5_S5_,"axG",@progbits,_ZL33flash_attn_stream_k_fixup_uniformILi112ELi64ELi1EEvPfPK15HIP_vector_typeIfLj2EEiiiiiiS1_IjLj3EES5_S5_,comdat
.Lfunc_end21:
	.size	_ZL33flash_attn_stream_k_fixup_uniformILi112ELi64ELi1EEvPfPK15HIP_vector_typeIfLj2EEiiiiiiS1_IjLj3EES5_S5_, .Lfunc_end21-_ZL33flash_attn_stream_k_fixup_uniformILi112ELi64ELi1EEvPfPK15HIP_vector_typeIfLj2EEiiiiiiS1_IjLj3EES5_S5_
                                        ; -- End function
	.section	.AMDGPU.csdata,"",@progbits
; Kernel info:
; codeLenInByte = 980
; NumSgprs: 22
; NumVgprs: 15
; ScratchSize: 0
; MemoryBound: 0
; FloatMode: 240
; IeeeMode: 1
; LDSByteSize: 0 bytes/workgroup (compile time only)
; SGPRBlocks: 2
; VGPRBlocks: 1
; NumSGPRsForWavesPerEU: 22
; NumVGPRsForWavesPerEU: 15
; Occupancy: 16
; WaveLimiterHint : 0
; COMPUTE_PGM_RSRC2:SCRATCH_EN: 0
; COMPUTE_PGM_RSRC2:USER_SGPR: 13
; COMPUTE_PGM_RSRC2:TRAP_HANDLER: 0
; COMPUTE_PGM_RSRC2:TGID_X_EN: 1
; COMPUTE_PGM_RSRC2:TGID_Y_EN: 1
; COMPUTE_PGM_RSRC2:TGID_Z_EN: 1
; COMPUTE_PGM_RSRC2:TIDIG_COMP_CNT: 0
	.section	.text._ZL33flash_attn_stream_k_fixup_generalILi112ELi64ELi1EEvPfPK15HIP_vector_typeIfLj2EEiiiiS1_IjLj3EES5_S5_S5_,"axG",@progbits,_ZL33flash_attn_stream_k_fixup_generalILi112ELi64ELi1EEvPfPK15HIP_vector_typeIfLj2EEiiiiS1_IjLj3EES5_S5_S5_,comdat
	.globl	_ZL33flash_attn_stream_k_fixup_generalILi112ELi64ELi1EEvPfPK15HIP_vector_typeIfLj2EEiiiiS1_IjLj3EES5_S5_S5_ ; -- Begin function _ZL33flash_attn_stream_k_fixup_generalILi112ELi64ELi1EEvPfPK15HIP_vector_typeIfLj2EEiiiiS1_IjLj3EES5_S5_S5_
	.p2align	8
	.type	_ZL33flash_attn_stream_k_fixup_generalILi112ELi64ELi1EEvPfPK15HIP_vector_typeIfLj2EEiiiiS1_IjLj3EES5_S5_S5_,@function
_ZL33flash_attn_stream_k_fixup_generalILi112ELi64ELi1EEvPfPK15HIP_vector_typeIfLj2EEiiiiS1_IjLj3EES5_S5_S5_: ; @_ZL33flash_attn_stream_k_fixup_generalILi112ELi64ELi1EEvPfPK15HIP_vector_typeIfLj2EEiiiiS1_IjLj3EES5_S5_S5_
; %bb.0:
	s_clause 0x1
	s_load_b128 s[4:7], s[0:1], 0x10
	s_load_b32 s20, s[0:1], 0x50
	s_mov_b32 s2, 0
	s_waitcnt lgkmcnt(0)
	s_mul_hi_i32 s3, s7, s13
	s_mul_i32 s12, s7, s13
	s_cmp_lg_u64 s[2:3], 0
	s_cbranch_scc0 .LBB22_21
; %bb.1:
	v_cvt_f32_ubyte0_e32 v1, 0
	v_cvt_f32_u32_e32 v2, s20
	s_sub_u32 s10, 0, s20
	s_subb_u32 s11, 0, 0
	s_delay_alu instid0(VALU_DEP_1) | instskip(NEXT) | instid1(VALU_DEP_1)
	v_fmamk_f32 v1, v1, 0x4f800000, v2
	v_rcp_f32_e32 v1, v1
	s_waitcnt_depctr 0xfff
	v_mul_f32_e32 v1, 0x5f7ffffc, v1
	s_delay_alu instid0(VALU_DEP_1) | instskip(NEXT) | instid1(VALU_DEP_1)
	v_mul_f32_e32 v2, 0x2f800000, v1
	v_trunc_f32_e32 v2, v2
	s_delay_alu instid0(VALU_DEP_1) | instskip(SKIP_1) | instid1(VALU_DEP_2)
	v_fmamk_f32 v1, v2, 0xcf800000, v1
	v_cvt_u32_f32_e32 v2, v2
	v_cvt_u32_f32_e32 v1, v1
	s_delay_alu instid0(VALU_DEP_2) | instskip(NEXT) | instid1(VALU_DEP_2)
	v_readfirstlane_b32 s8, v2
	v_readfirstlane_b32 s9, v1
	s_delay_alu instid0(VALU_DEP_2) | instskip(NEXT) | instid1(VALU_DEP_1)
	s_mul_i32 s16, s10, s8
	s_mul_hi_u32 s18, s10, s9
	s_mul_i32 s17, s11, s9
	s_add_i32 s16, s18, s16
	s_mul_i32 s19, s10, s9
	s_add_i32 s16, s16, s17
	s_mul_hi_u32 s18, s9, s19
	s_mul_hi_u32 s21, s8, s19
	s_mul_i32 s17, s8, s19
	s_mul_hi_u32 s19, s9, s16
	s_mul_i32 s9, s9, s16
	s_mul_hi_u32 s22, s8, s16
	s_add_u32 s9, s18, s9
	s_addc_u32 s18, 0, s19
	s_add_u32 s9, s9, s17
	s_mul_i32 s16, s8, s16
	s_addc_u32 s9, s18, s21
	s_addc_u32 s17, s22, 0
	s_add_u32 s9, s9, s16
	s_addc_u32 s16, 0, s17
	v_add_co_u32 v1, s9, v1, s9
	s_delay_alu instid0(VALU_DEP_1) | instskip(SKIP_1) | instid1(VALU_DEP_1)
	s_cmp_lg_u32 s9, 0
	s_addc_u32 s8, s8, s16
	v_readfirstlane_b32 s9, v1
	s_mul_i32 s16, s10, s8
	s_delay_alu instid0(VALU_DEP_1)
	s_mul_hi_u32 s17, s10, s9
	s_mul_i32 s11, s11, s9
	s_add_i32 s16, s17, s16
	s_mul_i32 s10, s10, s9
	s_add_i32 s16, s16, s11
	s_mul_hi_u32 s17, s8, s10
	s_mul_i32 s18, s8, s10
	s_mul_hi_u32 s10, s9, s10
	s_mul_hi_u32 s19, s9, s16
	s_mul_i32 s9, s9, s16
	s_mul_hi_u32 s11, s8, s16
	s_add_u32 s9, s10, s9
	s_addc_u32 s10, 0, s19
	s_add_u32 s9, s9, s18
	s_mul_i32 s16, s8, s16
	s_addc_u32 s9, s10, s17
	s_addc_u32 s10, s11, 0
	s_add_u32 s9, s9, s16
	s_addc_u32 s10, 0, s10
	v_add_co_u32 v1, s9, v1, s9
	s_delay_alu instid0(VALU_DEP_1) | instskip(SKIP_2) | instid1(SALU_CYCLE_1)
	s_cmp_lg_u32 s9, 0
	s_addc_u32 s16, s8, s10
	s_ashr_i32 s8, s3, 31
	s_add_u32 s10, s12, s8
	s_addc_u32 s11, s3, s8
	v_readfirstlane_b32 s3, v1
	s_mov_b32 s9, s8
	s_delay_alu instid0(SALU_CYCLE_1) | instskip(NEXT) | instid1(SALU_CYCLE_1)
	s_xor_b64 s[10:11], s[10:11], s[8:9]
	s_mul_i32 s18, s10, s16
	s_delay_alu instid0(VALU_DEP_1)
	s_mul_hi_u32 s19, s10, s3
	s_mul_hi_u32 s17, s10, s16
	;; [unrolled: 1-line block ×3, first 2 shown]
	s_mul_i32 s3, s11, s3
	s_add_u32 s18, s19, s18
	s_addc_u32 s17, 0, s17
	s_mul_hi_u32 s21, s11, s16
	s_add_u32 s3, s18, s3
	s_mul_i32 s16, s11, s16
	s_addc_u32 s3, s17, s22
	s_addc_u32 s17, s21, 0
	s_add_u32 s3, s3, s16
	s_addc_u32 s16, 0, s17
	s_mul_i32 s18, s20, s3
	s_add_u32 s17, s3, 1
	v_sub_co_u32 v1, s10, s10, s18
	s_mul_hi_u32 s18, s20, s3
	s_addc_u32 s19, s16, 0
	s_mul_i32 s21, s20, s16
	s_delay_alu instid0(VALU_DEP_1)
	v_sub_co_u32 v2, s22, v1, s20
	s_add_u32 s23, s3, 2
	s_addc_u32 s24, s16, 0
	s_add_i32 s18, s18, s21
	s_cmp_lg_u32 s10, 0
	v_readfirstlane_b32 s10, v2
	s_subb_u32 s11, s11, s18
	s_cmp_lg_u32 s22, 0
	s_subb_u32 s18, s11, 0
	s_delay_alu instid0(VALU_DEP_1) | instskip(SKIP_4) | instid1(SALU_CYCLE_1)
	s_cmp_ge_u32 s10, s20
	s_cselect_b32 s10, -1, 0
	s_cmp_eq_u32 s18, 0
	v_readfirstlane_b32 s18, v1
	s_cselect_b32 s10, s10, -1
	s_cmp_lg_u32 s10, 0
	s_cselect_b32 s10, s23, s17
	s_cselect_b32 s17, s24, s19
	s_cmp_ge_u32 s18, s20
	s_cselect_b32 s18, -1, 0
	s_cmp_eq_u32 s11, 0
	s_cselect_b32 s11, s18, -1
	s_delay_alu instid0(SALU_CYCLE_1) | instskip(SKIP_2) | instid1(SALU_CYCLE_1)
	s_cmp_lg_u32 s11, 0
	s_cselect_b32 s11, s17, s16
	s_cselect_b32 s10, s10, s3
	s_xor_b64 s[10:11], s[10:11], s[8:9]
	s_delay_alu instid0(SALU_CYCLE_1)
	s_sub_u32 s16, s10, s8
	s_load_b128 s[8:11], s[0:1], 0x44
	s_and_not1_b32 vcc_lo, exec_lo, s2
	s_cbranch_vccnz .LBB22_3
.LBB22_2:
	v_cvt_f32_u32_e32 v1, s20
	s_sub_i32 s3, 0, s20
	s_delay_alu instid0(VALU_DEP_1) | instskip(SKIP_2) | instid1(VALU_DEP_1)
	v_rcp_iflag_f32_e32 v1, v1
	s_waitcnt_depctr 0xfff
	v_mul_f32_e32 v1, 0x4f7ffffe, v1
	v_cvt_u32_f32_e32 v1, v1
	s_delay_alu instid0(VALU_DEP_1) | instskip(NEXT) | instid1(VALU_DEP_1)
	v_readfirstlane_b32 s2, v1
	s_mul_i32 s3, s3, s2
	s_delay_alu instid0(SALU_CYCLE_1) | instskip(NEXT) | instid1(SALU_CYCLE_1)
	s_mul_hi_u32 s3, s2, s3
	s_add_i32 s2, s2, s3
	s_delay_alu instid0(SALU_CYCLE_1) | instskip(NEXT) | instid1(SALU_CYCLE_1)
	s_mul_hi_u32 s2, s12, s2
	s_mul_i32 s3, s2, s20
	s_waitcnt lgkmcnt(0)
	s_add_i32 s11, s2, 1
	s_sub_i32 s3, s12, s3
	s_delay_alu instid0(SALU_CYCLE_1)
	s_sub_i32 s12, s3, s20
	s_cmp_ge_u32 s3, s20
	s_cselect_b32 s2, s11, s2
	s_cselect_b32 s3, s12, s3
	s_add_i32 s11, s2, 1
	s_cmp_ge_u32 s3, s20
	s_cselect_b32 s16, s11, s2
.LBB22_3:
	s_waitcnt lgkmcnt(0)
	s_add_i32 s11, s13, 1
	s_mov_b32 s2, 0
	s_mul_hi_i32 s3, s7, s11
	s_mul_i32 s11, s7, s11
	s_cmp_lg_u64 s[2:3], 0
	s_cbranch_scc0 .LBB22_22
; %bb.4:
	v_cvt_f32_ubyte0_e32 v1, 0
	v_cvt_f32_u32_e32 v2, s20
	s_sub_u32 s18, 0, s20
	s_subb_u32 s19, 0, 0
	s_delay_alu instid0(VALU_DEP_1) | instskip(NEXT) | instid1(VALU_DEP_1)
	v_fmamk_f32 v1, v1, 0x4f800000, v2
	v_rcp_f32_e32 v1, v1
	s_waitcnt_depctr 0xfff
	v_mul_f32_e32 v1, 0x5f7ffffc, v1
	s_delay_alu instid0(VALU_DEP_1) | instskip(NEXT) | instid1(VALU_DEP_1)
	v_mul_f32_e32 v2, 0x2f800000, v1
	v_trunc_f32_e32 v2, v2
	s_delay_alu instid0(VALU_DEP_1) | instskip(SKIP_1) | instid1(VALU_DEP_2)
	v_fmamk_f32 v1, v2, 0xcf800000, v1
	v_cvt_u32_f32_e32 v2, v2
	v_cvt_u32_f32_e32 v1, v1
	s_delay_alu instid0(VALU_DEP_2) | instskip(NEXT) | instid1(VALU_DEP_2)
	v_readfirstlane_b32 s12, v2
	v_readfirstlane_b32 s17, v1
	s_delay_alu instid0(VALU_DEP_2) | instskip(NEXT) | instid1(VALU_DEP_1)
	s_mul_i32 s21, s18, s12
	s_mul_hi_u32 s23, s18, s17
	s_mul_i32 s22, s19, s17
	s_add_i32 s21, s23, s21
	s_mul_i32 s24, s18, s17
	s_add_i32 s21, s21, s22
	s_mul_hi_u32 s23, s17, s24
	s_mul_hi_u32 s25, s12, s24
	s_mul_i32 s22, s12, s24
	s_mul_hi_u32 s24, s17, s21
	s_mul_i32 s17, s17, s21
	s_mul_hi_u32 s26, s12, s21
	s_add_u32 s17, s23, s17
	s_addc_u32 s23, 0, s24
	s_add_u32 s17, s17, s22
	s_mul_i32 s21, s12, s21
	s_addc_u32 s17, s23, s25
	s_addc_u32 s22, s26, 0
	s_add_u32 s17, s17, s21
	s_addc_u32 s21, 0, s22
	v_add_co_u32 v1, s17, v1, s17
	s_delay_alu instid0(VALU_DEP_1) | instskip(SKIP_1) | instid1(VALU_DEP_1)
	s_cmp_lg_u32 s17, 0
	s_addc_u32 s12, s12, s21
	v_readfirstlane_b32 s17, v1
	s_mul_i32 s21, s18, s12
	s_delay_alu instid0(VALU_DEP_1)
	s_mul_hi_u32 s22, s18, s17
	s_mul_i32 s19, s19, s17
	s_add_i32 s21, s22, s21
	s_mul_i32 s18, s18, s17
	s_add_i32 s21, s21, s19
	s_mul_hi_u32 s22, s12, s18
	s_mul_i32 s23, s12, s18
	s_mul_hi_u32 s18, s17, s18
	s_mul_hi_u32 s24, s17, s21
	s_mul_i32 s17, s17, s21
	s_mul_hi_u32 s19, s12, s21
	s_add_u32 s17, s18, s17
	s_addc_u32 s18, 0, s24
	s_add_u32 s17, s17, s23
	s_mul_i32 s21, s12, s21
	s_addc_u32 s17, s18, s22
	s_addc_u32 s18, s19, 0
	s_add_u32 s17, s17, s21
	s_addc_u32 s18, 0, s18
	v_add_co_u32 v1, s17, v1, s17
	s_delay_alu instid0(VALU_DEP_1) | instskip(SKIP_2) | instid1(SALU_CYCLE_1)
	s_cmp_lg_u32 s17, 0
	s_addc_u32 s12, s12, s18
	s_ashr_i32 s18, s3, 31
	s_add_u32 s22, s11, s18
	s_addc_u32 s23, s3, s18
	v_readfirstlane_b32 s3, v1
	s_mov_b32 s19, s18
	s_delay_alu instid0(SALU_CYCLE_1) | instskip(NEXT) | instid1(SALU_CYCLE_1)
	s_xor_b64 s[22:23], s[22:23], s[18:19]
	s_mul_i32 s21, s22, s12
	s_delay_alu instid0(VALU_DEP_1)
	s_mul_hi_u32 s24, s22, s3
	s_mul_hi_u32 s17, s22, s12
	;; [unrolled: 1-line block ×3, first 2 shown]
	s_mul_i32 s3, s23, s3
	s_add_u32 s21, s24, s21
	s_addc_u32 s17, 0, s17
	s_mul_hi_u32 s25, s23, s12
	s_add_u32 s3, s21, s3
	s_mul_i32 s12, s23, s12
	s_addc_u32 s3, s17, s26
	s_addc_u32 s17, s25, 0
	s_add_u32 s3, s3, s12
	s_addc_u32 s12, 0, s17
	s_mul_i32 s21, s20, s3
	s_add_u32 s17, s3, 1
	v_sub_co_u32 v1, s21, s22, s21
	s_mul_hi_u32 s22, s20, s3
	s_addc_u32 s24, s12, 0
	s_mul_i32 s25, s20, s12
	s_delay_alu instid0(VALU_DEP_1)
	v_sub_co_u32 v2, s26, v1, s20
	s_add_u32 s27, s3, 2
	s_addc_u32 s28, s12, 0
	s_add_i32 s22, s22, s25
	s_cmp_lg_u32 s21, 0
	v_readfirstlane_b32 s21, v2
	s_subb_u32 s22, s23, s22
	s_cmp_lg_u32 s26, 0
	s_subb_u32 s23, s22, 0
	s_delay_alu instid0(VALU_DEP_1) | instskip(SKIP_4) | instid1(SALU_CYCLE_1)
	s_cmp_ge_u32 s21, s20
	s_cselect_b32 s21, -1, 0
	s_cmp_eq_u32 s23, 0
	v_readfirstlane_b32 s23, v1
	s_cselect_b32 s21, s21, -1
	s_cmp_lg_u32 s21, 0
	s_cselect_b32 s17, s27, s17
	s_cselect_b32 s21, s28, s24
	s_cmp_ge_u32 s23, s20
	s_cselect_b32 s23, -1, 0
	s_cmp_eq_u32 s22, 0
	s_cselect_b32 s22, s23, -1
	s_delay_alu instid0(SALU_CYCLE_1) | instskip(SKIP_2) | instid1(SALU_CYCLE_1)
	s_cmp_lg_u32 s22, 0
	s_cselect_b32 s23, s21, s12
	s_cselect_b32 s22, s17, s3
	s_xor_b64 s[22:23], s[22:23], s[18:19]
	s_delay_alu instid0(SALU_CYCLE_1)
	s_sub_u32 s18, s22, s18
	s_and_not1_b32 vcc_lo, exec_lo, s2
	s_cbranch_vccnz .LBB22_6
.LBB22_5:
	v_cvt_f32_u32_e32 v1, s20
	s_sub_i32 s3, 0, s20
	s_delay_alu instid0(VALU_DEP_1) | instskip(SKIP_2) | instid1(VALU_DEP_1)
	v_rcp_iflag_f32_e32 v1, v1
	s_waitcnt_depctr 0xfff
	v_mul_f32_e32 v1, 0x4f7ffffe, v1
	v_cvt_u32_f32_e32 v1, v1
	s_delay_alu instid0(VALU_DEP_1) | instskip(NEXT) | instid1(VALU_DEP_1)
	v_readfirstlane_b32 s2, v1
	s_mul_i32 s3, s3, s2
	s_delay_alu instid0(SALU_CYCLE_1) | instskip(NEXT) | instid1(SALU_CYCLE_1)
	s_mul_hi_u32 s3, s2, s3
	s_add_i32 s2, s2, s3
	s_delay_alu instid0(SALU_CYCLE_1) | instskip(NEXT) | instid1(SALU_CYCLE_1)
	s_mul_hi_u32 s2, s11, s2
	s_mul_i32 s3, s2, s20
	s_delay_alu instid0(SALU_CYCLE_1)
	s_sub_i32 s3, s11, s3
	s_add_i32 s11, s2, 1
	s_sub_i32 s12, s3, s20
	s_cmp_ge_u32 s3, s20
	s_cselect_b32 s2, s11, s2
	s_cselect_b32 s3, s12, s3
	s_add_i32 s11, s2, 1
	s_cmp_ge_u32 s3, s20
	s_cselect_b32 s18, s11, s2
.LBB22_6:
	s_delay_alu instid0(SALU_CYCLE_1) | instskip(SKIP_3) | instid1(SALU_CYCLE_1)
	s_cmp_eq_u32 s16, s18
	s_mul_hi_u32 s2, s16, s8
	s_cselect_b32 s3, -1, 0
	s_add_i32 s2, s2, s16
	s_lshr_b32 s11, s2, s9
	s_delay_alu instid0(SALU_CYCLE_1) | instskip(NEXT) | instid1(SALU_CYCLE_1)
	s_mul_i32 s2, s11, s10
	s_cmp_eq_u32 s2, s16
	s_mul_hi_u32 s2, s18, s8
	s_cselect_b32 s12, -1, 0
	s_add_i32 s2, s2, s18
	s_delay_alu instid0(SALU_CYCLE_1) | instskip(NEXT) | instid1(SALU_CYCLE_1)
	s_lshr_b32 s2, s2, s9
	s_cmp_eq_u32 s11, s2
	s_mul_i32 s2, s2, s10
	s_cselect_b32 s17, -1, 0
	s_cmp_lg_u32 s2, s18
	s_cselect_b32 s2, -1, 0
	s_or_b32 s3, s3, s12
	s_and_b32 s2, s17, s2
	s_delay_alu instid0(SALU_CYCLE_1) | instskip(NEXT) | instid1(SALU_CYCLE_1)
	s_or_b32 s2, s3, s2
	s_and_b32 vcc_lo, exec_lo, s2
	s_cbranch_vccnz .LBB22_24
; %bb.7:
	s_load_b256 s[24:31], s[0:1], 0x20
	s_waitcnt lgkmcnt(0)
	s_mul_hi_u32 s2, s16, s24
	s_delay_alu instid0(SALU_CYCLE_1) | instskip(NEXT) | instid1(SALU_CYCLE_1)
	s_add_i32 s2, s2, s16
	s_lshr_b32 s17, s2, s25
	s_load_b32 s2, s[0:1], 0x40
	s_mul_i32 s3, s17, s26
	s_delay_alu instid0(SALU_CYCLE_1) | instskip(NEXT) | instid1(SALU_CYCLE_1)
	s_sub_i32 s3, s16, s3
	s_mul_hi_u32 s12, s3, s27
	s_delay_alu instid0(SALU_CYCLE_1) | instskip(NEXT) | instid1(SALU_CYCLE_1)
	s_add_i32 s12, s3, s12
	s_lshr_b32 s19, s12, s28
	s_delay_alu instid0(SALU_CYCLE_1) | instskip(NEXT) | instid1(SALU_CYCLE_1)
	s_mul_i32 s12, s19, s29
	s_sub_i32 s3, s3, s12
	s_delay_alu instid0(SALU_CYCLE_1) | instskip(NEXT) | instid1(SALU_CYCLE_1)
	s_mul_hi_u32 s12, s3, s30
	s_add_i32 s12, s3, s12
	s_delay_alu instid0(SALU_CYCLE_1) | instskip(SKIP_3) | instid1(SALU_CYCLE_1)
	s_lshr_b32 s21, s12, s31
	s_mov_b32 s12, 0
	s_waitcnt lgkmcnt(0)
	s_mul_i32 s2, s21, s2
	s_sub_i32 s2, s3, s2
	s_delay_alu instid0(SALU_CYCLE_1) | instskip(NEXT) | instid1(SALU_CYCLE_1)
	s_mul_hi_u32 s3, s2, s8
	s_add_i32 s2, s2, s3
	s_delay_alu instid0(SALU_CYCLE_1) | instskip(NEXT) | instid1(SALU_CYCLE_1)
	s_lshr_b32 s18, s2, s9
	s_lshl_b32 s2, s18, 6
	s_delay_alu instid0(SALU_CYCLE_1) | instskip(NEXT) | instid1(SALU_CYCLE_1)
	s_add_i32 s2, s2, s14
	s_cmp_lt_i32 s2, s4
	s_cselect_b32 s2, -1, 0
	s_add_i32 s21, s21, s15
	s_delay_alu instid0(SALU_CYCLE_1) | instskip(SKIP_1) | instid1(SALU_CYCLE_1)
	s_cmp_lt_i32 s21, s6
	s_cselect_b32 s3, -1, 0
	s_and_b32 s2, s2, s3
	s_delay_alu instid0(SALU_CYCLE_1)
	s_and_not1_b32 vcc_lo, exec_lo, s2
	s_cbranch_vccnz .LBB22_24
; %bb.8:
	s_load_b128 s[0:3], s[0:1], 0x0
	s_lshl_b32 s22, s20, 8
	s_mov_b32 s23, s12
	s_add_i32 s15, s14, s15
	s_lshl_b64 s[22:23], s[22:23], 2
	s_mul_i32 s4, s17, s4
	s_mul_i32 s19, s19, s6
	v_cvt_f32_ubyte0_e32 v3, 0
	v_cvt_f32_u32_e32 v4, s20
	s_waitcnt lgkmcnt(0)
	s_add_u32 s6, s2, s22
	s_addc_u32 s17, s3, s23
	s_add_i32 s4, s4, s14
	s_add_i32 s14, s21, s19
	s_mul_i32 s4, s4, s5
	s_mul_i32 s5, s5, s18
	s_add_i32 s4, s14, s4
	s_mulk_i32 s5, 0x1c00
	s_mulk_i32 s4, 0x70
	s_delay_alu instid0(SALU_CYCLE_1) | instskip(NEXT) | instid1(VALU_DEP_1)
	v_add3_u32 v1, s5, s4, v0
	v_ashrrev_i32_e32 v2, 31, v1
	s_delay_alu instid0(VALU_DEP_1) | instskip(NEXT) | instid1(VALU_DEP_1)
	v_lshlrev_b64 v[1:2], 2, v[1:2]
	v_add_co_u32 v1, vcc_lo, s0, v1
	s_delay_alu instid0(VALU_DEP_2) | instskip(SKIP_1) | instid1(SALU_CYCLE_1)
	v_add_co_ci_u32_e32 v2, vcc_lo, s1, v2, vcc_lo
	s_lshl_b32 s0, s13, 6
	s_add_i32 s0, s0, s15
	global_load_b32 v5, v[1:2], off
	s_ashr_i32 s1, s0, 31
	s_delay_alu instid0(SALU_CYCLE_1) | instskip(NEXT) | instid1(SALU_CYCLE_1)
	s_lshl_b64 s[0:1], s[0:1], 3
	s_add_u32 s0, s2, s0
	s_addc_u32 s1, s3, s1
	s_add_i32 s18, s13, -1
	s_load_b64 s[0:1], s[0:1], 0x0
	v_fmac_f32_e32 v4, 0x4f800000, v3
	s_sub_i32 s14, 0, s20
	s_delay_alu instid0(VALU_DEP_1)
	v_rcp_f32_e32 v3, v4
	s_waitcnt_depctr 0xfff
	v_mul_f32_e32 v6, 0x5f7ffffc, v3
	v_cvt_f32_u32_e32 v3, s20
	s_waitcnt lgkmcnt(0)
	v_mov_b32_e32 v8, s0
	s_delay_alu instid0(VALU_DEP_3) | instskip(NEXT) | instid1(VALU_DEP_3)
	v_mul_f32_e32 v4, 0x2f800000, v6
	v_rcp_iflag_f32_e32 v7, v3
	s_delay_alu instid0(VALU_DEP_1) | instskip(SKIP_1) | instid1(VALU_DEP_2)
	v_trunc_f32_e32 v9, v4
	v_mad_u64_u32 v[3:4], null, 0x70, s15, v[0:1]
	v_fmac_f32_e32 v6, 0xcf800000, v9
	s_waitcnt_depctr 0xfff
	v_dual_mul_f32 v10, 0x4f7ffffe, v7 :: v_dual_mov_b32 v7, s1
	v_cvt_u32_f32_e32 v4, v9
	v_cvt_u32_f32_e32 v0, v6
	s_delay_alu instid0(VALU_DEP_3)
	v_cvt_u32_f32_e32 v6, v10
.LBB22_9:                               ; =>This Inner Loop Header: Depth=1
	s_mul_hi_i32 s13, s18, s7
	s_mul_i32 s4, s18, s7
	s_cmp_lg_u64 s[12:13], 0
	s_mov_b32 s5, -1
                                        ; implicit-def: $sgpr0_sgpr1
	s_cbranch_scc0 .LBB22_11
; %bb.10:                               ;   in Loop: Header=BB22_9 Depth=1
	v_readfirstlane_b32 s0, v0
	v_readfirstlane_b32 s1, v4
	s_sub_u32 s5, 0, s20
	s_subb_u32 s19, 0, 0
	s_delay_alu instid0(VALU_DEP_2) | instskip(NEXT) | instid1(VALU_DEP_1)
	s_mul_hi_u32 s21, s5, s0
	s_mul_i32 s22, s5, s1
	s_mul_i32 s23, s19, s0
	s_add_i32 s21, s21, s22
	s_mul_i32 s22, s5, s0
	s_add_i32 s21, s21, s23
	s_mul_hi_u32 s23, s0, s22
	s_mul_i32 s24, s0, s21
	s_mul_hi_u32 s0, s0, s21
	s_add_u32 s23, s23, s24
	s_mul_i32 s25, s1, s22
	s_addc_u32 s0, 0, s0
	s_mul_hi_u32 s22, s1, s22
	s_mul_hi_u32 s24, s1, s21
	s_add_u32 s23, s23, s25
	s_addc_u32 s0, s0, s22
	s_mul_i32 s21, s1, s21
	s_addc_u32 s22, s24, 0
	s_add_u32 s0, s0, s21
	s_addc_u32 s21, 0, s22
	v_add_co_u32 v9, s0, v0, s0
	s_delay_alu instid0(VALU_DEP_1) | instskip(SKIP_1) | instid1(VALU_DEP_1)
	s_cmp_lg_u32 s0, 0
	s_addc_u32 s1, s1, s21
	v_readfirstlane_b32 s0, v9
	s_mul_i32 s21, s5, s1
	s_delay_alu instid0(VALU_DEP_1)
	s_mul_hi_u32 s22, s5, s0
	s_mul_i32 s19, s19, s0
	s_add_i32 s21, s22, s21
	s_mul_i32 s5, s5, s0
	s_add_i32 s21, s21, s19
	s_mul_hi_u32 s19, s1, s5
	s_mul_i32 s23, s1, s5
	s_mul_i32 s24, s0, s21
	s_mul_hi_u32 s5, s0, s5
	s_mul_hi_u32 s0, s0, s21
	s_add_u32 s5, s5, s24
	s_addc_u32 s0, 0, s0
	s_mul_hi_u32 s22, s1, s21
	s_add_u32 s5, s5, s23
	s_addc_u32 s0, s0, s19
	s_mul_i32 s5, s1, s21
	s_addc_u32 s19, s22, 0
	s_add_u32 s0, s0, s5
	s_addc_u32 s5, 0, s19
	v_add_co_u32 v9, s0, v9, s0
	s_delay_alu instid0(VALU_DEP_1) | instskip(SKIP_2) | instid1(SALU_CYCLE_1)
	s_cmp_lg_u32 s0, 0
	s_addc_u32 s5, s1, s5
	s_ashr_i32 s0, s13, 31
	s_add_u32 s22, s4, s0
	s_addc_u32 s23, s13, s0
	v_readfirstlane_b32 s13, v9
	s_mov_b32 s1, s0
	s_delay_alu instid0(SALU_CYCLE_1) | instskip(NEXT) | instid1(SALU_CYCLE_1)
	s_xor_b64 s[22:23], s[22:23], s[0:1]
	s_mul_i32 s19, s22, s5
	s_delay_alu instid0(VALU_DEP_1)
	s_mul_hi_u32 s21, s22, s13
	s_mul_hi_u32 s24, s22, s5
	s_add_u32 s19, s21, s19
	s_mul_i32 s25, s23, s13
	s_addc_u32 s21, 0, s24
	s_mul_hi_u32 s13, s23, s13
	s_mul_hi_u32 s24, s23, s5
	s_add_u32 s19, s19, s25
	s_addc_u32 s13, s21, s13
	s_mul_i32 s5, s23, s5
	s_addc_u32 s19, s24, 0
	s_add_u32 s5, s13, s5
	s_addc_u32 s13, 0, s19
	s_mul_i32 s21, s20, s5
	s_add_u32 s19, s5, 1
	v_sub_co_u32 v9, s21, s22, s21
	s_addc_u32 s22, s13, 0
	s_mul_i32 s25, s20, s13
	s_mul_hi_u32 s27, s20, s5
	s_delay_alu instid0(VALU_DEP_1)
	v_sub_co_u32 v10, s26, v9, s20
	s_add_u32 s24, s5, 2
	s_addc_u32 s28, s13, 0
	s_add_i32 s27, s27, s25
	s_cmp_lg_u32 s21, 0
	v_readfirstlane_b32 s21, v10
	s_subb_u32 s23, s23, s27
	s_cmp_lg_u32 s26, 0
	s_subb_u32 s25, s23, 0
	s_delay_alu instid0(VALU_DEP_1) | instskip(SKIP_4) | instid1(SALU_CYCLE_1)
	s_cmp_ge_u32 s21, s20
	s_cselect_b32 s21, -1, 0
	s_cmp_eq_u32 s25, 0
	v_readfirstlane_b32 s25, v9
	s_cselect_b32 s21, s21, -1
	s_cmp_lg_u32 s21, 0
	s_cselect_b32 s19, s24, s19
	s_cselect_b32 s21, s28, s22
	s_cmp_ge_u32 s25, s20
	s_cselect_b32 s22, -1, 0
	s_cmp_eq_u32 s23, 0
	s_cselect_b32 s22, s22, -1
	s_delay_alu instid0(SALU_CYCLE_1) | instskip(SKIP_4) | instid1(SALU_CYCLE_1)
	s_cmp_lg_u32 s22, 0
	s_cselect_b32 s23, s21, s13
	s_cselect_b32 s22, s19, s5
	s_mov_b32 s5, 0
	s_xor_b64 s[22:23], s[22:23], s[0:1]
	s_sub_u32 s0, s22, s0
.LBB22_11:                              ;   in Loop: Header=BB22_9 Depth=1
	s_and_not1_b32 vcc_lo, exec_lo, s5
	s_cbranch_vccnz .LBB22_13
; %bb.12:                               ;   in Loop: Header=BB22_9 Depth=1
	v_readfirstlane_b32 s0, v6
	s_delay_alu instid0(VALU_DEP_1) | instskip(NEXT) | instid1(SALU_CYCLE_1)
	s_mul_i32 s1, s14, s0
	s_mul_hi_u32 s1, s0, s1
	s_delay_alu instid0(SALU_CYCLE_1) | instskip(NEXT) | instid1(SALU_CYCLE_1)
	s_add_i32 s0, s0, s1
	s_mul_hi_u32 s0, s4, s0
	s_delay_alu instid0(SALU_CYCLE_1) | instskip(NEXT) | instid1(SALU_CYCLE_1)
	s_mul_i32 s1, s0, s20
	s_sub_i32 s1, s4, s1
	s_add_i32 s4, s0, 1
	s_sub_i32 s5, s1, s20
	s_cmp_ge_u32 s1, s20
	s_cselect_b32 s0, s4, s0
	s_cselect_b32 s1, s5, s1
	s_add_i32 s4, s0, 1
	s_cmp_ge_u32 s1, s20
	s_cselect_b32 s0, s4, s0
.LBB22_13:                              ;   in Loop: Header=BB22_9 Depth=1
	s_delay_alu instid0(SALU_CYCLE_1)
	s_cmp_lg_u32 s16, s0
	s_cbranch_scc0 .LBB22_17
; %bb.14:                               ;   in Loop: Header=BB22_9 Depth=1
	s_add_i32 s1, s18, s20
	s_mov_b32 s5, s12
	s_lshl_b32 s1, s1, 6
	s_mov_b32 s19, s16
	s_add_i32 s4, s1, s15
	s_mul_hi_u32 s1, s0, s8
	s_lshl_b64 s[4:5], s[4:5], 3
	s_delay_alu instid0(SALU_CYCLE_1) | instskip(SKIP_2) | instid1(SALU_CYCLE_1)
	s_add_u32 s4, s2, s4
	s_addc_u32 s5, s3, s5
	s_add_i32 s1, s1, s0
	s_lshr_b32 s1, s1, s9
	s_delay_alu instid0(SALU_CYCLE_1) | instskip(NEXT) | instid1(SALU_CYCLE_1)
	s_mul_i32 s13, s1, s10
	s_cmp_eq_u32 s13, s0
	s_cselect_b32 s13, -1, 0
	s_cmp_lt_u32 s1, s11
	s_cselect_b32 s1, -1, 0
	s_delay_alu instid0(SALU_CYCLE_1)
	s_or_b32 s1, s1, s13
	s_mov_b32 s13, -1
	s_and_b32 vcc_lo, exec_lo, s1
	s_mov_b32 s1, s18
	s_cbranch_vccnz .LBB22_16
; %bb.15:                               ;   in Loop: Header=BB22_9 Depth=1
	s_add_i32 s1, s18, -1
	s_mov_b32 s13, 0
	s_mov_b32 s19, s0
.LBB22_16:                              ;   in Loop: Header=BB22_9 Depth=1
	v_mad_u64_u32 v[9:10], null, 0x1c00, s18, v[3:4]
	s_load_b64 s[4:5], s[4:5], 0x0
	s_delay_alu instid0(VALU_DEP_1) | instskip(NEXT) | instid1(VALU_DEP_1)
	v_ashrrev_i32_e32 v10, 31, v9
	v_lshlrev_b64 v[9:10], 2, v[9:10]
	s_delay_alu instid0(VALU_DEP_1) | instskip(NEXT) | instid1(VALU_DEP_2)
	v_add_co_u32 v9, vcc_lo, s6, v9
	v_add_co_ci_u32_e32 v10, vcc_lo, s17, v10, vcc_lo
	s_waitcnt lgkmcnt(0)
	v_max_f32_e64 v11, s4, s4
	global_load_b32 v10, v[9:10], off
	v_max_f32_e32 v9, v8, v8
	s_delay_alu instid0(VALU_DEP_1) | instskip(NEXT) | instid1(VALU_DEP_1)
	v_max_f32_e32 v9, v9, v11
	v_sub_f32_e32 v12, v8, v9
	s_delay_alu instid0(VALU_DEP_1) | instskip(NEXT) | instid1(VALU_DEP_1)
	v_dual_mul_f32 v14, 0x3fb8aa3b, v12 :: v_dual_sub_f32 v11, s4, v9
	v_rndne_f32_e32 v18, v14
	s_delay_alu instid0(VALU_DEP_2) | instskip(SKIP_2) | instid1(VALU_DEP_4)
	v_mul_f32_e32 v13, 0x3fb8aa3b, v11
	v_fma_f32 v17, 0x3fb8aa3b, v12, -v14
	v_cmp_ngt_f32_e32 vcc_lo, 0xc2ce8ed0, v11
	v_sub_f32_e32 v14, v14, v18
	s_delay_alu instid0(VALU_DEP_4) | instskip(SKIP_2) | instid1(VALU_DEP_3)
	v_fma_f32 v15, 0x3fb8aa3b, v11, -v13
	v_rndne_f32_e32 v16, v13
	v_fmac_f32_e32 v17, 0x32a5705f, v12
	v_fmac_f32_e32 v15, 0x32a5705f, v11
	s_delay_alu instid0(VALU_DEP_2) | instskip(NEXT) | instid1(VALU_DEP_1)
	v_dual_sub_f32 v13, v13, v16 :: v_dual_add_f32 v14, v14, v17
	v_add_f32_e32 v13, v13, v15
	s_delay_alu instid0(VALU_DEP_2) | instskip(SKIP_2) | instid1(VALU_DEP_3)
	v_exp_f32_e32 v14, v14
	v_cvt_i32_f32_e32 v15, v16
	v_cvt_i32_f32_e32 v16, v18
	v_exp_f32_e32 v13, v13
	s_waitcnt_depctr 0xfff
	v_ldexp_f32 v14, v14, v16
	v_ldexp_f32 v13, v13, v15
	s_delay_alu instid0(VALU_DEP_1) | instskip(SKIP_1) | instid1(VALU_DEP_4)
	v_cndmask_b32_e32 v13, 0, v13, vcc_lo
	v_cmp_ngt_f32_e32 vcc_lo, 0xc2ce8ed0, v12
	v_cndmask_b32_e32 v14, 0, v14, vcc_lo
	v_cmp_nlt_f32_e32 vcc_lo, 0x42b17218, v11
	s_delay_alu instid0(VALU_DEP_4) | instskip(SKIP_1) | instid1(VALU_DEP_4)
	v_cndmask_b32_e32 v13, 0x7f800000, v13, vcc_lo
	v_cmp_nlt_f32_e32 vcc_lo, 0x42b17218, v12
	v_cndmask_b32_e32 v14, 0x7f800000, v14, vcc_lo
	v_cmp_le_f32_e32 vcc_lo, 0xc1a00000, v11
	s_delay_alu instid0(VALU_DEP_4) | instskip(SKIP_1) | instid1(VALU_DEP_4)
	v_cndmask_b32_e32 v11, 0, v13, vcc_lo
	v_cmp_le_f32_e32 vcc_lo, 0xc1a00000, v12
	v_cndmask_b32_e32 v12, 0, v14, vcc_lo
	s_waitcnt vmcnt(0)
	s_delay_alu instid0(VALU_DEP_3) | instskip(NEXT) | instid1(VALU_DEP_1)
	v_mul_f32_e32 v10, v10, v11
	v_dual_mul_f32 v11, s5, v11 :: v_dual_fmac_f32 v10, v5, v12
	s_delay_alu instid0(VALU_DEP_1)
	v_fmac_f32_e32 v11, v7, v12
	s_cbranch_execz .LBB22_18
	s_branch .LBB22_19
.LBB22_17:                              ;   in Loop: Header=BB22_9 Depth=1
                                        ; implicit-def: $sgpr13
                                        ; implicit-def: $vgpr10
                                        ; implicit-def: $vgpr9
                                        ; implicit-def: $vgpr11
                                        ; implicit-def: $sgpr1
                                        ; implicit-def: $sgpr19
.LBB22_18:                              ;   in Loop: Header=BB22_9 Depth=1
	s_waitcnt vmcnt(0)
	v_dual_mov_b32 v11, v7 :: v_dual_mov_b32 v10, v5
	v_mov_b32_e32 v9, v8
	s_add_i32 s1, s18, -1
	s_mov_b32 s13, 0
	s_mov_b32 s19, s16
.LBB22_19:                              ;   in Loop: Header=BB22_9 Depth=1
	s_and_not1_b32 vcc_lo, exec_lo, s13
	s_cbranch_vccz .LBB22_23
; %bb.20:                               ;   in Loop: Header=BB22_9 Depth=1
	v_dual_mov_b32 v7, v11 :: v_dual_mov_b32 v8, v9
	s_waitcnt vmcnt(0)
	v_mov_b32_e32 v5, v10
	s_mov_b32 s16, s19
	s_mov_b32 s18, s1
	s_branch .LBB22_9
.LBB22_21:
                                        ; implicit-def: $sgpr16_sgpr17
	s_load_b128 s[8:11], s[0:1], 0x44
	s_branch .LBB22_2
.LBB22_22:
                                        ; implicit-def: $sgpr18_sgpr19
	s_branch .LBB22_5
.LBB22_23:
	v_div_scale_f32 v0, null, v11, v11, v10
	s_delay_alu instid0(VALU_DEP_1) | instskip(SKIP_2) | instid1(VALU_DEP_1)
	v_rcp_f32_e32 v3, v0
	s_waitcnt_depctr 0xfff
	v_fma_f32 v4, -v0, v3, 1.0
	v_fmac_f32_e32 v3, v4, v3
	v_div_scale_f32 v4, vcc_lo, v10, v11, v10
	s_waitcnt vmcnt(0)
	s_delay_alu instid0(VALU_DEP_1) | instskip(NEXT) | instid1(VALU_DEP_1)
	v_mul_f32_e32 v5, v4, v3
	v_fma_f32 v6, -v0, v5, v4
	s_delay_alu instid0(VALU_DEP_1) | instskip(NEXT) | instid1(VALU_DEP_1)
	v_fmac_f32_e32 v5, v6, v3
	v_fma_f32 v0, -v0, v5, v4
	s_delay_alu instid0(VALU_DEP_1) | instskip(NEXT) | instid1(VALU_DEP_1)
	v_div_fmas_f32 v0, v0, v3, v5
	v_div_fixup_f32 v0, v0, v11, v10
	global_store_b32 v[1:2], v0, off
.LBB22_24:
	s_nop 0
	s_sendmsg sendmsg(MSG_DEALLOC_VGPRS)
	s_endpgm
	.section	.rodata,"a",@progbits
	.p2align	6, 0x0
	.amdhsa_kernel _ZL33flash_attn_stream_k_fixup_generalILi112ELi64ELi1EEvPfPK15HIP_vector_typeIfLj2EEiiiiS1_IjLj3EES5_S5_S5_
		.amdhsa_group_segment_fixed_size 0
		.amdhsa_private_segment_fixed_size 0
		.amdhsa_kernarg_size 336
		.amdhsa_user_sgpr_count 13
		.amdhsa_user_sgpr_dispatch_ptr 0
		.amdhsa_user_sgpr_queue_ptr 0
		.amdhsa_user_sgpr_kernarg_segment_ptr 1
		.amdhsa_user_sgpr_dispatch_id 0
		.amdhsa_user_sgpr_private_segment_size 0
		.amdhsa_wavefront_size32 1
		.amdhsa_uses_dynamic_stack 0
		.amdhsa_enable_private_segment 0
		.amdhsa_system_sgpr_workgroup_id_x 1
		.amdhsa_system_sgpr_workgroup_id_y 1
		.amdhsa_system_sgpr_workgroup_id_z 1
		.amdhsa_system_sgpr_workgroup_info 0
		.amdhsa_system_vgpr_workitem_id 0
		.amdhsa_next_free_vgpr 19
		.amdhsa_next_free_sgpr 32
		.amdhsa_reserve_vcc 1
		.amdhsa_float_round_mode_32 0
		.amdhsa_float_round_mode_16_64 0
		.amdhsa_float_denorm_mode_32 3
		.amdhsa_float_denorm_mode_16_64 3
		.amdhsa_dx10_clamp 1
		.amdhsa_ieee_mode 1
		.amdhsa_fp16_overflow 0
		.amdhsa_workgroup_processor_mode 1
		.amdhsa_memory_ordered 1
		.amdhsa_forward_progress 0
		.amdhsa_shared_vgpr_count 0
		.amdhsa_exception_fp_ieee_invalid_op 0
		.amdhsa_exception_fp_denorm_src 0
		.amdhsa_exception_fp_ieee_div_zero 0
		.amdhsa_exception_fp_ieee_overflow 0
		.amdhsa_exception_fp_ieee_underflow 0
		.amdhsa_exception_fp_ieee_inexact 0
		.amdhsa_exception_int_div_zero 0
	.end_amdhsa_kernel
	.section	.text._ZL33flash_attn_stream_k_fixup_generalILi112ELi64ELi1EEvPfPK15HIP_vector_typeIfLj2EEiiiiS1_IjLj3EES5_S5_S5_,"axG",@progbits,_ZL33flash_attn_stream_k_fixup_generalILi112ELi64ELi1EEvPfPK15HIP_vector_typeIfLj2EEiiiiS1_IjLj3EES5_S5_S5_,comdat
.Lfunc_end22:
	.size	_ZL33flash_attn_stream_k_fixup_generalILi112ELi64ELi1EEvPfPK15HIP_vector_typeIfLj2EEiiiiS1_IjLj3EES5_S5_S5_, .Lfunc_end22-_ZL33flash_attn_stream_k_fixup_generalILi112ELi64ELi1EEvPfPK15HIP_vector_typeIfLj2EEiiiiS1_IjLj3EES5_S5_S5_
                                        ; -- End function
	.section	.AMDGPU.csdata,"",@progbits
; Kernel info:
; codeLenInByte = 3220
; NumSgprs: 34
; NumVgprs: 19
; ScratchSize: 0
; MemoryBound: 0
; FloatMode: 240
; IeeeMode: 1
; LDSByteSize: 0 bytes/workgroup (compile time only)
; SGPRBlocks: 4
; VGPRBlocks: 2
; NumSGPRsForWavesPerEU: 34
; NumVGPRsForWavesPerEU: 19
; Occupancy: 16
; WaveLimiterHint : 0
; COMPUTE_PGM_RSRC2:SCRATCH_EN: 0
; COMPUTE_PGM_RSRC2:USER_SGPR: 13
; COMPUTE_PGM_RSRC2:TRAP_HANDLER: 0
; COMPUTE_PGM_RSRC2:TGID_X_EN: 1
; COMPUTE_PGM_RSRC2:TGID_Y_EN: 1
; COMPUTE_PGM_RSRC2:TGID_Z_EN: 1
; COMPUTE_PGM_RSRC2:TIDIG_COMP_CNT: 0
	.section	.text._ZL26flash_attn_combine_resultsILi112EEvPKfPK15HIP_vector_typeIfLj2EEPfi,"axG",@progbits,_ZL26flash_attn_combine_resultsILi112EEvPKfPK15HIP_vector_typeIfLj2EEPfi,comdat
	.globl	_ZL26flash_attn_combine_resultsILi112EEvPKfPK15HIP_vector_typeIfLj2EEPfi ; -- Begin function _ZL26flash_attn_combine_resultsILi112EEvPKfPK15HIP_vector_typeIfLj2EEPfi
	.p2align	8
	.type	_ZL26flash_attn_combine_resultsILi112EEvPKfPK15HIP_vector_typeIfLj2EEPfi,@function
_ZL26flash_attn_combine_resultsILi112EEvPKfPK15HIP_vector_typeIfLj2EEPfi: ; @_ZL26flash_attn_combine_resultsILi112EEvPKfPK15HIP_vector_typeIfLj2EEPfi
; %bb.0:
	s_clause 0x3
	s_load_b64 s[2:3], s[0:1], 0x20
	s_load_b32 s12, s[0:1], 0x18
	s_load_b128 s[8:11], s[0:1], 0x0
	s_load_b64 s[16:17], s[0:1], 0x10
	v_lshlrev_b32_e32 v7, 2, v0
	s_mov_b32 s4, exec_lo
	s_waitcnt lgkmcnt(0)
	s_mul_i32 s0, s2, s15
	s_lshl_b32 s1, s12, 1
	s_add_i32 s0, s0, s13
	s_delay_alu instid0(SALU_CYCLE_1) | instskip(NEXT) | instid1(SALU_CYCLE_1)
	s_mul_i32 s7, s0, s3
	s_add_i32 s7, s7, s14
	s_delay_alu instid0(SALU_CYCLE_1)
	s_mul_i32 s2, s7, s12
	v_cmpx_gt_i32_e64 s1, v0
	s_cbranch_execz .LBB23_3
; %bb.1:
	s_ashr_i32 s3, s2, 31
	v_dual_mov_b32 v4, v0 :: v_dual_add_nc_u32 v3, 0, v7
	s_lshl_b64 s[14:15], s[2:3], 3
	s_delay_alu instid0(SALU_CYCLE_1) | instskip(SKIP_2) | instid1(VALU_DEP_1)
	s_add_u32 s0, s10, s14
	s_addc_u32 s3, s11, s15
	v_add_co_u32 v1, s0, s0, v7
	v_add_co_ci_u32_e64 v2, null, s3, 0, s0
	s_mov_b32 s3, 0
	.p2align	6
.LBB23_2:                               ; =>This Inner Loop Header: Depth=1
	global_load_b32 v5, v[1:2], off
	v_add_nc_u32_e32 v4, 0x70, v4
	v_add_co_u32 v1, vcc_lo, 0x1c0, v1
	v_add_co_ci_u32_e32 v2, vcc_lo, 0, v2, vcc_lo
	s_delay_alu instid0(VALU_DEP_3) | instskip(NEXT) | instid1(VALU_DEP_1)
	v_cmp_le_i32_e64 s0, s1, v4
	s_or_b32 s3, s0, s3
	s_waitcnt vmcnt(0)
	ds_store_b32 v3, v5
	v_add_nc_u32_e32 v3, 0x1c0, v3
	s_and_not1_b32 exec_lo, exec_lo, s3
	s_cbranch_execnz .LBB23_2
.LBB23_3:
	s_or_b32 exec_lo, exec_lo, s4
	v_mov_b32_e32 v1, 0
	s_waitcnt lgkmcnt(0)
	s_barrier
	buffer_gl0_inv
	s_cmp_lt_i32 s12, 2
	ds_load_b32 v8, v1
	s_cbranch_scc1 .LBB23_11
; %bb.4:
	s_add_i32 s1, s12, -2
	s_add_i32 s0, s12, -1
	s_cmp_lt_u32 s1, 7
	s_cbranch_scc1 .LBB23_8
; %bb.5:
	s_mov_b32 s3, 0
	s_add_i32 s1, 0, 8
	s_and_b32 s4, s0, -8
	.p2align	6
.LBB23_6:                               ; =>This Inner Loop Header: Depth=1
	v_mov_b32_e32 v9, s1
	s_mov_b32 s5, s3
	s_add_i32 s3, s3, 8
	s_add_i32 s1, s1, 64
	s_cmp_eq_u32 s4, s3
	ds_load_2addr_b32 v[1:2], v9 offset1:2
	ds_load_2addr_b32 v[3:4], v9 offset0:4 offset1:6
	ds_load_2addr_b32 v[5:6], v9 offset0:8 offset1:10
	;; [unrolled: 1-line block ×3, first 2 shown]
	s_waitcnt lgkmcnt(3)
	v_max3_f32 v1, v8, v1, v2
	s_waitcnt lgkmcnt(2)
	s_delay_alu instid0(VALU_DEP_1) | instskip(SKIP_1) | instid1(VALU_DEP_1)
	v_max3_f32 v1, v1, v3, v4
	s_waitcnt lgkmcnt(1)
	v_max3_f32 v1, v1, v5, v6
	s_waitcnt lgkmcnt(0)
	s_delay_alu instid0(VALU_DEP_1)
	v_max3_f32 v8, v1, v9, v10
	s_cbranch_scc0 .LBB23_6
; %bb.7:
	s_add_i32 s1, s5, 9
	s_and_b32 s0, s0, 7
	s_delay_alu instid0(SALU_CYCLE_1)
	s_cmp_eq_u32 s0, 0
	s_cbranch_scc0 .LBB23_9
	s_branch .LBB23_11
.LBB23_8:
	s_mov_b32 s1, 1
	s_and_b32 s0, s0, 7
	s_delay_alu instid0(SALU_CYCLE_1)
	s_cmp_eq_u32 s0, 0
	s_cbranch_scc1 .LBB23_11
.LBB23_9:
	s_lshl_b32 s1, s1, 3
	s_delay_alu instid0(SALU_CYCLE_1)
	s_add_i32 s1, s1, 0
.LBB23_10:                              ; =>This Inner Loop Header: Depth=1
	s_waitcnt lgkmcnt(0)
	s_delay_alu instid0(VALU_DEP_1)
	v_dual_mov_b32 v1, s1 :: v_dual_max_f32 v2, v8, v8
	s_add_i32 s0, s0, -1
	s_add_i32 s1, s1, 8
	s_cmp_lg_u32 s0, 0
	ds_load_b32 v1, v1
	s_waitcnt lgkmcnt(0)
	v_max_f32_e32 v1, v1, v1
	s_delay_alu instid0(VALU_DEP_1)
	v_max_f32_e32 v8, v2, v1
	s_cbranch_scc1 .LBB23_10
.LBB23_11:
	s_cmp_lt_i32 s12, 1
	s_cbranch_scc1 .LBB23_16
; %bb.12:
	s_mul_i32 s10, s2, 0x70
	v_mov_b32_e32 v9, 0
	s_ashr_i32 s11, s10, 31
	s_cmp_lt_u32 s12, 8
	s_mov_b32 s14, 0
	s_cbranch_scc1 .LBB23_17
; %bb.13:
	s_lshl_b64 s[0:1], s[10:11], 2
	v_dual_mov_b32 v6, 0 :: v_dual_add_nc_u32 v3, 0x1c0, v0
	s_add_u32 s15, s8, s0
	s_addc_u32 s18, s9, s1
	v_add_co_u32 v1, s0, s15, v7
	s_delay_alu instid0(VALU_DEP_1) | instskip(SKIP_1) | instid1(VALU_DEP_3)
	v_add_co_ci_u32_e64 v2, null, s18, 0, s0
	v_dual_mov_b32 v10, 0 :: v_dual_mov_b32 v9, 0
	v_add_co_u32 v1, vcc_lo, 0x1c0, v1
	s_delay_alu instid0(VALU_DEP_3)
	v_add_co_ci_u32_e32 v2, vcc_lo, 0, v2, vcc_lo
	s_and_b32 s13, s12, 0x7ffffff8
	s_mov_b32 s19, 0
.LBB23_14:                              ; =>This Inner Loop Header: Depth=1
	v_dual_mov_b32 v4, v6 :: v_dual_add_nc_u32 v5, 0xfffffe40, v3
	s_clause 0x1
	global_load_b32 v27, v[1:2], off
	global_load_b32 v28, v[1:2], off offset:448
	s_add_i32 s19, s19, 8
	v_lshlrev_b64 v[11:12], 2, v[5:6]
	v_lshlrev_b64 v[13:14], 2, v[3:4]
	v_add_nc_u32_e32 v5, 0xffffff90, v3
	s_delay_alu instid0(VALU_DEP_3) | instskip(NEXT) | instid1(VALU_DEP_4)
	v_add_co_u32 v11, vcc_lo, s15, v11
	v_add_co_ci_u32_e32 v12, vcc_lo, s18, v12, vcc_lo
	s_delay_alu instid0(VALU_DEP_3)
	v_lshlrev_b64 v[15:16], 2, v[5:6]
	v_add_co_u32 v13, vcc_lo, s15, v13
	global_load_b32 v29, v[11:12], off
	v_add_nc_u32_e32 v5, 0x70, v3
	v_add_co_ci_u32_e32 v14, vcc_lo, s18, v14, vcc_lo
	v_add_co_u32 v15, vcc_lo, s15, v15
	v_add_co_ci_u32_e32 v16, vcc_lo, s18, v16, vcc_lo
	global_load_b32 v31, v[13:14], off
	v_lshlrev_b64 v[11:12], 2, v[5:6]
	v_add_nc_u32_e32 v5, 0xe0, v3
	global_load_b32 v30, v[15:16], off
	v_lshlrev_b64 v[17:18], 2, v[5:6]
	v_add_nc_u32_e32 v5, 0x150, v3
	v_add_co_u32 v11, vcc_lo, s15, v11
	v_add_co_ci_u32_e32 v12, vcc_lo, s18, v12, vcc_lo
	s_delay_alu instid0(VALU_DEP_3)
	v_lshlrev_b64 v[4:5], 2, v[5:6]
	v_add_nc_u32_e32 v3, 0x380, v3
	global_load_b32 v32, v[11:12], off
	v_add_co_u32 v11, vcc_lo, s15, v17
	v_add_co_ci_u32_e32 v12, vcc_lo, s18, v18, vcc_lo
	v_add_co_u32 v4, vcc_lo, s15, v4
	v_add_co_ci_u32_e32 v5, vcc_lo, s18, v5, vcc_lo
	s_clause 0x1
	global_load_b32 v33, v[11:12], off
	global_load_b32 v4, v[4:5], off
	v_mov_b32_e32 v5, s14
	ds_load_2addr_b64 v[11:14], v5 offset1:1
	ds_load_2addr_b64 v[15:18], v5 offset0:2 offset1:3
	ds_load_2addr_b64 v[19:22], v5 offset0:4 offset1:5
	;; [unrolled: 1-line block ×3, first 2 shown]
	s_add_i32 s14, s14, 64
	s_cmp_eq_u32 s13, s19
	s_waitcnt lgkmcnt(3)
	v_sub_f32_e32 v5, v11, v8
	v_sub_f32_e32 v11, v13, v8
	s_waitcnt lgkmcnt(2)
	v_sub_f32_e32 v13, v15, v8
	v_sub_f32_e32 v15, v17, v8
	;; [unrolled: 3-line block ×3, first 2 shown]
	s_waitcnt lgkmcnt(0)
	s_delay_alu instid0(VALU_DEP_1) | instskip(SKIP_2) | instid1(VALU_DEP_3)
	v_dual_sub_f32 v21, v23, v8 :: v_dual_mul_f32 v38, 0x3fb8aa3b, v19
	v_mul_f32_e32 v34, 0x3fb8aa3b, v11
	v_cmp_ngt_f32_e32 vcc_lo, 0xc2ce8ed0, v11
	v_fma_f32 v51, 0x3fb8aa3b, v19, -v38
	s_delay_alu instid0(VALU_DEP_3) | instskip(SKIP_2) | instid1(VALU_DEP_4)
	v_fma_f32 v43, 0x3fb8aa3b, v11, -v34
	v_rndne_f32_e32 v44, v34
	v_rndne_f32_e32 v52, v38
	v_fmac_f32_e32 v51, 0x32a5705f, v19
	s_delay_alu instid0(VALU_DEP_3) | instskip(SKIP_1) | instid1(VALU_DEP_4)
	v_dual_fmac_f32 v43, 0x32a5705f, v11 :: v_dual_sub_f32 v34, v34, v44
	v_cvt_i32_f32_e32 v44, v44
	v_sub_f32_e32 v38, v38, v52
	v_cvt_i32_f32_e32 v52, v52
	s_delay_alu instid0(VALU_DEP_4)
	v_add_f32_e32 v34, v34, v43
	v_mul_f32_e32 v36, 0x3fb8aa3b, v15
	v_cmp_ngt_f32_e64 s6, 0xc2ce8ed0, v5
	v_cmp_ngt_f32_e64 s1, 0xc2ce8ed0, v15
	v_add_f32_e32 v38, v38, v51
	v_exp_f32_e32 v34, v34
	v_fma_f32 v47, 0x3fb8aa3b, v15, -v36
	v_rndne_f32_e32 v48, v36
	v_cmp_ngt_f32_e64 s3, 0xc2ce8ed0, v19
	v_exp_f32_e32 v38, v38
	s_delay_alu instid0(VALU_DEP_2) | instskip(SKIP_1) | instid1(TRANS32_DEP_2)
	v_dual_fmac_f32 v47, 0x32a5705f, v15 :: v_dual_sub_f32 v36, v36, v48
	v_cvt_i32_f32_e32 v48, v48
	v_ldexp_f32 v34, v34, v44
	v_sub_f32_e32 v23, v25, v8
	s_delay_alu instid0(VALU_DEP_4) | instskip(SKIP_1) | instid1(VALU_DEP_4)
	v_dual_mul_f32 v25, 0x3fb8aa3b, v5 :: v_dual_add_f32 v36, v36, v47
	v_cmp_ngt_f32_e64 s2, 0xc2ce8ed0, v17
	v_cndmask_b32_e32 v34, 0, v34, vcc_lo
	v_cmp_nlt_f32_e32 vcc_lo, 0x42b17218, v5
	s_delay_alu instid0(VALU_DEP_4)
	v_fma_f32 v41, 0x3fb8aa3b, v5, -v25
	v_rndne_f32_e32 v42, v25
	v_mul_f32_e32 v40, 0x3fb8aa3b, v23
	v_exp_f32_e32 v36, v36
	v_cmp_ngt_f32_e64 s0, 0xc2ce8ed0, v13
	v_fmac_f32_e32 v41, 0x32a5705f, v5
	v_sub_f32_e32 v25, v25, v42
	v_cvt_i32_f32_e32 v42, v42
	v_fma_f32 v55, 0x3fb8aa3b, v23, -v40
	v_rndne_f32_e32 v56, v40
	v_ldexp_f32 v38, v38, v52
	v_add_f32_e32 v25, v25, v41
	v_cmp_ngt_f32_e64 s5, 0xc2ce8ed0, v23
	v_ldexp_f32 v36, v36, v48
	v_dual_fmac_f32 v55, 0x32a5705f, v23 :: v_dual_sub_f32 v40, v40, v56
	s_delay_alu instid0(VALU_DEP_4) | instskip(SKIP_1) | instid1(VALU_DEP_3)
	v_exp_f32_e32 v25, v25
	v_cvt_i32_f32_e32 v56, v56
	v_cndmask_b32_e64 v36, 0, v36, s1
	v_cndmask_b32_e64 v38, 0, v38, s3
	v_add_f32_e32 v40, v40, v55
	v_cmp_ngt_f32_e64 s4, 0xc2ce8ed0, v21
	s_delay_alu instid0(VALU_DEP_2) | instskip(NEXT) | instid1(TRANS32_DEP_2)
	v_exp_f32_e32 v40, v40
	v_ldexp_f32 v25, v25, v42
	s_delay_alu instid0(VALU_DEP_1) | instskip(SKIP_4) | instid1(VALU_DEP_3)
	v_cndmask_b32_e64 v25, 0, v25, s6
	s_waitcnt_depctr 0xfff
	v_ldexp_f32 v40, v40, v56
	v_cndmask_b32_e32 v5, 0x7f800000, v25, vcc_lo
	v_cmp_nlt_f32_e32 vcc_lo, 0x42b17218, v11
	v_cndmask_b32_e64 v40, 0, v40, s5
	s_delay_alu instid0(VALU_DEP_3) | instskip(SKIP_2) | instid1(VALU_DEP_3)
	v_dual_fmac_f32 v10, v5, v12 :: v_dual_cndmask_b32 v11, 0x7f800000, v34
	v_mul_f32_e32 v35, 0x3fb8aa3b, v13
	v_cmp_nlt_f32_e32 vcc_lo, 0x42b17218, v13
	v_fmac_f32_e32 v10, v11, v14
	s_delay_alu instid0(VALU_DEP_3) | instskip(SKIP_1) | instid1(VALU_DEP_2)
	v_fma_f32 v45, 0x3fb8aa3b, v13, -v35
	v_rndne_f32_e32 v46, v35
	v_fmac_f32_e32 v45, 0x32a5705f, v13
	s_delay_alu instid0(VALU_DEP_2) | instskip(SKIP_1) | instid1(VALU_DEP_2)
	v_sub_f32_e32 v35, v35, v46
	v_cvt_i32_f32_e32 v46, v46
	v_add_f32_e32 v35, v35, v45
	s_delay_alu instid0(VALU_DEP_1) | instskip(SKIP_2) | instid1(VALU_DEP_1)
	v_exp_f32_e32 v35, v35
	s_waitcnt_depctr 0xfff
	v_ldexp_f32 v35, v35, v46
	v_cndmask_b32_e64 v35, 0, v35, s0
	v_cmp_nlt_f32_e64 s0, 0x42b17218, v23
	s_waitcnt vmcnt(5)
	v_fmac_f32_e32 v9, v29, v5
	s_delay_alu instid0(VALU_DEP_3) | instskip(SKIP_2) | instid1(VALU_DEP_3)
	v_cndmask_b32_e32 v5, 0x7f800000, v35, vcc_lo
	v_mul_f32_e32 v37, 0x3fb8aa3b, v17
	v_cmp_nlt_f32_e32 vcc_lo, 0x42b17218, v15
	v_dual_fmac_f32 v9, v27, v11 :: v_dual_fmac_f32 v10, v5, v16
	s_delay_alu instid0(VALU_DEP_3)
	v_fma_f32 v49, 0x3fb8aa3b, v17, -v37
	v_rndne_f32_e32 v50, v37
	v_cndmask_b32_e32 v11, 0x7f800000, v36, vcc_lo
	v_mul_f32_e32 v39, 0x3fb8aa3b, v21
	v_fmac_f32_e32 v9, v28, v5
	v_fmac_f32_e32 v49, 0x32a5705f, v17
	v_sub_f32_e32 v37, v37, v50
	v_fmac_f32_e32 v10, v11, v18
	v_fma_f32 v53, 0x3fb8aa3b, v21, -v39
	v_rndne_f32_e32 v54, v39
	v_cvt_i32_f32_e32 v50, v50
	v_add_f32_e32 v37, v37, v49
	v_cmp_nlt_f32_e32 vcc_lo, 0x42b17218, v17
	v_fmac_f32_e32 v53, 0x32a5705f, v21
	v_sub_f32_e32 v39, v39, v54
	v_cvt_i32_f32_e32 v54, v54
	v_exp_f32_e32 v37, v37
	s_waitcnt vmcnt(3)
	v_fmac_f32_e32 v9, v30, v11
	v_add_f32_e32 v39, v39, v53
	s_delay_alu instid0(VALU_DEP_1) | instskip(SKIP_2) | instid1(VALU_DEP_1)
	v_exp_f32_e32 v39, v39
	s_waitcnt_depctr 0xfff
	v_ldexp_f32 v37, v37, v50
	v_cndmask_b32_e64 v37, 0, v37, s2
	v_ldexp_f32 v39, v39, v54
	s_delay_alu instid0(VALU_DEP_2) | instskip(SKIP_1) | instid1(VALU_DEP_3)
	v_cndmask_b32_e32 v5, 0x7f800000, v37, vcc_lo
	v_cmp_nlt_f32_e32 vcc_lo, 0x42b17218, v19
	v_cndmask_b32_e64 v39, 0, v39, s4
	s_delay_alu instid0(VALU_DEP_3) | instskip(SKIP_3) | instid1(VALU_DEP_2)
	v_dual_fmac_f32 v10, v5, v20 :: v_dual_cndmask_b32 v11, 0x7f800000, v38
	v_fmac_f32_e32 v9, v31, v5
	v_cmp_nlt_f32_e32 vcc_lo, 0x42b17218, v21
	s_waitcnt vmcnt(2)
	v_dual_fmac_f32 v10, v11, v22 :: v_dual_fmac_f32 v9, v32, v11
	v_cndmask_b32_e32 v5, 0x7f800000, v39, vcc_lo
	v_cndmask_b32_e64 v11, 0x7f800000, v40, s0
	v_add_co_u32 v1, vcc_lo, 0xe00, v1
	v_add_co_ci_u32_e32 v2, vcc_lo, 0, v2, vcc_lo
	s_delay_alu instid0(VALU_DEP_4) | instskip(SKIP_1) | instid1(VALU_DEP_1)
	v_fmac_f32_e32 v10, v5, v24
	s_waitcnt vmcnt(1)
	v_dual_fmac_f32 v9, v33, v5 :: v_dual_fmac_f32 v10, v11, v26
	s_waitcnt vmcnt(0)
	s_delay_alu instid0(VALU_DEP_1)
	v_fmac_f32_e32 v9, v4, v11
	s_cbranch_scc0 .LBB23_14
; %bb.15:
	s_and_b32 s1, s12, 7
	s_delay_alu instid0(SALU_CYCLE_1)
	s_cmp_eq_u32 s1, 0
	s_cbranch_scc0 .LBB23_18
	s_branch .LBB23_20
.LBB23_16:
	v_mov_b32_e32 v0, 0x7fc00000
	s_branch .LBB23_21
.LBB23_17:
	v_mov_b32_e32 v10, 0
	s_mov_b32 s13, 0
	s_and_b32 s1, s12, 7
	s_delay_alu instid0(SALU_CYCLE_1)
	s_cmp_eq_u32 s1, 0
	s_cbranch_scc1 .LBB23_20
.LBB23_18:
	v_mad_u64_u32 v[1:2], null, 0x70, s13, v[0:1]
	v_mov_b32_e32 v2, 0
	s_lshl_b64 s[2:3], s[10:11], 2
	s_delay_alu instid0(SALU_CYCLE_1) | instskip(SKIP_1) | instid1(VALU_DEP_1)
	s_add_u32 s0, s8, s2
	s_addc_u32 s2, s9, s3
	v_lshlrev_b64 v[0:1], 2, v[1:2]
	s_delay_alu instid0(VALU_DEP_1) | instskip(NEXT) | instid1(VALU_DEP_2)
	v_add_co_u32 v0, vcc_lo, s0, v0
	v_add_co_ci_u32_e32 v1, vcc_lo, s2, v1, vcc_lo
	s_lshl_b32 s0, s13, 3
	s_delay_alu instid0(SALU_CYCLE_1)
	s_add_i32 s2, s0, 0
	s_set_inst_prefetch_distance 0x1
	.p2align	6
.LBB23_19:                              ; =>This Inner Loop Header: Depth=1
	global_load_b32 v4, v[0:1], off
	v_mov_b32_e32 v2, s2
	s_add_i32 s1, s1, -1
	s_add_i32 s2, s2, 8
	s_cmp_lg_u32 s1, 0
	ds_load_b64 v[2:3], v2
	s_waitcnt lgkmcnt(0)
	v_sub_f32_e32 v2, v2, v8
	s_delay_alu instid0(VALU_DEP_1) | instskip(NEXT) | instid1(VALU_DEP_1)
	v_mul_f32_e32 v5, 0x3fb8aa3b, v2
	v_fma_f32 v6, 0x3fb8aa3b, v2, -v5
	v_rndne_f32_e32 v11, v5
	s_delay_alu instid0(VALU_DEP_1) | instskip(NEXT) | instid1(VALU_DEP_1)
	v_dual_fmac_f32 v6, 0x32a5705f, v2 :: v_dual_sub_f32 v5, v5, v11
	v_add_f32_e32 v5, v5, v6
	v_cvt_i32_f32_e32 v6, v11
	v_cmp_ngt_f32_e32 vcc_lo, 0xc2ce8ed0, v2
	v_cmp_nlt_f32_e64 s0, 0x42b17218, v2
	s_delay_alu instid0(VALU_DEP_4) | instskip(SKIP_2) | instid1(VALU_DEP_1)
	v_exp_f32_e32 v5, v5
	s_waitcnt_depctr 0xfff
	v_ldexp_f32 v5, v5, v6
	v_cndmask_b32_e32 v5, 0, v5, vcc_lo
	v_add_co_u32 v0, vcc_lo, 0x1c0, v0
	v_add_co_ci_u32_e32 v1, vcc_lo, 0, v1, vcc_lo
	s_delay_alu instid0(VALU_DEP_3) | instskip(SKIP_1) | instid1(VALU_DEP_1)
	v_cndmask_b32_e64 v2, 0x7f800000, v5, s0
	s_waitcnt vmcnt(0)
	v_dual_fmac_f32 v10, v2, v3 :: v_dual_fmac_f32 v9, v4, v2
	s_cbranch_scc1 .LBB23_19
.LBB23_20:
	s_set_inst_prefetch_distance 0x2
	s_delay_alu instid0(VALU_DEP_1) | instskip(NEXT) | instid1(VALU_DEP_1)
	v_div_scale_f32 v0, null, v10, v10, v9
	v_rcp_f32_e32 v1, v0
	s_waitcnt_depctr 0xfff
	v_fma_f32 v2, -v0, v1, 1.0
	s_delay_alu instid0(VALU_DEP_1) | instskip(SKIP_1) | instid1(VALU_DEP_1)
	v_fmac_f32_e32 v1, v2, v1
	v_div_scale_f32 v2, vcc_lo, v9, v10, v9
	v_mul_f32_e32 v3, v2, v1
	s_delay_alu instid0(VALU_DEP_1) | instskip(NEXT) | instid1(VALU_DEP_1)
	v_fma_f32 v4, -v0, v3, v2
	v_fmac_f32_e32 v3, v4, v1
	s_delay_alu instid0(VALU_DEP_1) | instskip(NEXT) | instid1(VALU_DEP_1)
	v_fma_f32 v0, -v0, v3, v2
	v_div_fmas_f32 v0, v0, v1, v3
	s_delay_alu instid0(VALU_DEP_1)
	v_div_fixup_f32 v0, v0, v10, v9
.LBB23_21:
	s_mul_i32 s0, s7, 0x70
	s_delay_alu instid0(SALU_CYCLE_1) | instskip(NEXT) | instid1(SALU_CYCLE_1)
	s_ashr_i32 s1, s0, 31
	s_lshl_b64 s[0:1], s[0:1], 2
	s_delay_alu instid0(SALU_CYCLE_1)
	s_add_u32 s0, s16, s0
	s_addc_u32 s1, s17, s1
	global_store_b32 v7, v0, s[0:1]
	s_nop 0
	s_sendmsg sendmsg(MSG_DEALLOC_VGPRS)
	s_endpgm
	.section	.rodata,"a",@progbits
	.p2align	6, 0x0
	.amdhsa_kernel _ZL26flash_attn_combine_resultsILi112EEvPKfPK15HIP_vector_typeIfLj2EEPfi
		.amdhsa_group_segment_fixed_size 0
		.amdhsa_private_segment_fixed_size 0
		.amdhsa_kernarg_size 288
		.amdhsa_user_sgpr_count 13
		.amdhsa_user_sgpr_dispatch_ptr 0
		.amdhsa_user_sgpr_queue_ptr 0
		.amdhsa_user_sgpr_kernarg_segment_ptr 1
		.amdhsa_user_sgpr_dispatch_id 0
		.amdhsa_user_sgpr_private_segment_size 0
		.amdhsa_wavefront_size32 1
		.amdhsa_uses_dynamic_stack 0
		.amdhsa_enable_private_segment 0
		.amdhsa_system_sgpr_workgroup_id_x 1
		.amdhsa_system_sgpr_workgroup_id_y 1
		.amdhsa_system_sgpr_workgroup_id_z 1
		.amdhsa_system_sgpr_workgroup_info 0
		.amdhsa_system_vgpr_workitem_id 0
		.amdhsa_next_free_vgpr 57
		.amdhsa_next_free_sgpr 20
		.amdhsa_reserve_vcc 1
		.amdhsa_float_round_mode_32 0
		.amdhsa_float_round_mode_16_64 0
		.amdhsa_float_denorm_mode_32 3
		.amdhsa_float_denorm_mode_16_64 3
		.amdhsa_dx10_clamp 1
		.amdhsa_ieee_mode 1
		.amdhsa_fp16_overflow 0
		.amdhsa_workgroup_processor_mode 1
		.amdhsa_memory_ordered 1
		.amdhsa_forward_progress 0
		.amdhsa_shared_vgpr_count 0
		.amdhsa_exception_fp_ieee_invalid_op 0
		.amdhsa_exception_fp_denorm_src 0
		.amdhsa_exception_fp_ieee_div_zero 0
		.amdhsa_exception_fp_ieee_overflow 0
		.amdhsa_exception_fp_ieee_underflow 0
		.amdhsa_exception_fp_ieee_inexact 0
		.amdhsa_exception_int_div_zero 0
	.end_amdhsa_kernel
	.section	.text._ZL26flash_attn_combine_resultsILi112EEvPKfPK15HIP_vector_typeIfLj2EEPfi,"axG",@progbits,_ZL26flash_attn_combine_resultsILi112EEvPKfPK15HIP_vector_typeIfLj2EEPfi,comdat
.Lfunc_end23:
	.size	_ZL26flash_attn_combine_resultsILi112EEvPKfPK15HIP_vector_typeIfLj2EEPfi, .Lfunc_end23-_ZL26flash_attn_combine_resultsILi112EEvPKfPK15HIP_vector_typeIfLj2EEPfi
                                        ; -- End function
	.section	.AMDGPU.csdata,"",@progbits
; Kernel info:
; codeLenInByte = 2380
; NumSgprs: 22
; NumVgprs: 57
; ScratchSize: 0
; MemoryBound: 0
; FloatMode: 240
; IeeeMode: 1
; LDSByteSize: 0 bytes/workgroup (compile time only)
; SGPRBlocks: 2
; VGPRBlocks: 7
; NumSGPRsForWavesPerEU: 22
; NumVGPRsForWavesPerEU: 57
; Occupancy: 16
; WaveLimiterHint : 1
; COMPUTE_PGM_RSRC2:SCRATCH_EN: 0
; COMPUTE_PGM_RSRC2:USER_SGPR: 13
; COMPUTE_PGM_RSRC2:TRAP_HANDLER: 0
; COMPUTE_PGM_RSRC2:TGID_X_EN: 1
; COMPUTE_PGM_RSRC2:TGID_Y_EN: 1
; COMPUTE_PGM_RSRC2:TGID_Z_EN: 1
; COMPUTE_PGM_RSRC2:TIDIG_COMP_CNT: 0
	.section	.text._ZL18flash_attn_ext_f16ILi128ELi128ELi64ELi1ELb0ELb0EEvPKcS1_S1_S1_S1_PKiPfP15HIP_vector_typeIfLj2EEffffjfiS5_IjLj3EEiiiiiiiiiiiliiliiiiil,"axG",@progbits,_ZL18flash_attn_ext_f16ILi128ELi128ELi64ELi1ELb0ELb0EEvPKcS1_S1_S1_S1_PKiPfP15HIP_vector_typeIfLj2EEffffjfiS5_IjLj3EEiiiiiiiiiiiliiliiiiil,comdat
	.globl	_ZL18flash_attn_ext_f16ILi128ELi128ELi64ELi1ELb0ELb0EEvPKcS1_S1_S1_S1_PKiPfP15HIP_vector_typeIfLj2EEffffjfiS5_IjLj3EEiiiiiiiiiiiliiliiiiil ; -- Begin function _ZL18flash_attn_ext_f16ILi128ELi128ELi64ELi1ELb0ELb0EEvPKcS1_S1_S1_S1_PKiPfP15HIP_vector_typeIfLj2EEffffjfiS5_IjLj3EEiiiiiiiiiiiliiliiiiil
	.p2align	8
	.type	_ZL18flash_attn_ext_f16ILi128ELi128ELi64ELi1ELb0ELb0EEvPKcS1_S1_S1_S1_PKiPfP15HIP_vector_typeIfLj2EEffffjfiS5_IjLj3EEiiiiiiiiiiiliiliiiiil,@function
_ZL18flash_attn_ext_f16ILi128ELi128ELi64ELi1ELb0ELb0EEvPKcS1_S1_S1_S1_PKiPfP15HIP_vector_typeIfLj2EEffffjfiS5_IjLj3EEiiiiiiiiiiiliiliiiiil: ; @_ZL18flash_attn_ext_f16ILi128ELi128ELi64ELi1ELb0ELb0EEvPKcS1_S1_S1_S1_PKiPfP15HIP_vector_typeIfLj2EEffffjfiS5_IjLj3EEiiiiiiiiiiiliiliiiiil
; %bb.0:
	v_mov_b32_e32 v0, 0x6e3
	s_add_u32 s8, s0, 0xd0
	s_addc_u32 s9, s1, 0
	s_mov_b32 s32, 0
	s_getpc_b64 s[0:1]
	s_add_u32 s0, s0, _ZL14no_device_codePKciS0_iS0_@rel32@lo+4
	s_addc_u32 s1, s1, _ZL14no_device_codePKciS0_iS0_@rel32@hi+12
	s_delay_alu instid0(SALU_CYCLE_1)
	s_swappc_b64 s[30:31], s[0:1]
	.section	.rodata,"a",@progbits
	.p2align	6, 0x0
	.amdhsa_kernel _ZL18flash_attn_ext_f16ILi128ELi128ELi64ELi1ELb0ELb0EEvPKcS1_S1_S1_S1_PKiPfP15HIP_vector_typeIfLj2EEffffjfiS5_IjLj3EEiiiiiiiiiiiliiliiiiil
		.amdhsa_group_segment_fixed_size 0
		.amdhsa_private_segment_fixed_size 16
		.amdhsa_kernarg_size 464
		.amdhsa_user_sgpr_count 15
		.amdhsa_user_sgpr_dispatch_ptr 0
		.amdhsa_user_sgpr_queue_ptr 0
		.amdhsa_user_sgpr_kernarg_segment_ptr 1
		.amdhsa_user_sgpr_dispatch_id 0
		.amdhsa_user_sgpr_private_segment_size 0
		.amdhsa_wavefront_size32 1
		.amdhsa_uses_dynamic_stack 0
		.amdhsa_enable_private_segment 1
		.amdhsa_system_sgpr_workgroup_id_x 1
		.amdhsa_system_sgpr_workgroup_id_y 0
		.amdhsa_system_sgpr_workgroup_id_z 0
		.amdhsa_system_sgpr_workgroup_info 0
		.amdhsa_system_vgpr_workitem_id 0
		.amdhsa_next_free_vgpr 37
		.amdhsa_next_free_sgpr 34
		.amdhsa_reserve_vcc 1
		.amdhsa_float_round_mode_32 0
		.amdhsa_float_round_mode_16_64 0
		.amdhsa_float_denorm_mode_32 3
		.amdhsa_float_denorm_mode_16_64 3
		.amdhsa_dx10_clamp 1
		.amdhsa_ieee_mode 1
		.amdhsa_fp16_overflow 0
		.amdhsa_workgroup_processor_mode 1
		.amdhsa_memory_ordered 1
		.amdhsa_forward_progress 0
		.amdhsa_shared_vgpr_count 0
		.amdhsa_exception_fp_ieee_invalid_op 0
		.amdhsa_exception_fp_denorm_src 0
		.amdhsa_exception_fp_ieee_div_zero 0
		.amdhsa_exception_fp_ieee_overflow 0
		.amdhsa_exception_fp_ieee_underflow 0
		.amdhsa_exception_fp_ieee_inexact 0
		.amdhsa_exception_int_div_zero 0
	.end_amdhsa_kernel
	.section	.text._ZL18flash_attn_ext_f16ILi128ELi128ELi64ELi1ELb0ELb0EEvPKcS1_S1_S1_S1_PKiPfP15HIP_vector_typeIfLj2EEffffjfiS5_IjLj3EEiiiiiiiiiiiliiliiiiil,"axG",@progbits,_ZL18flash_attn_ext_f16ILi128ELi128ELi64ELi1ELb0ELb0EEvPKcS1_S1_S1_S1_PKiPfP15HIP_vector_typeIfLj2EEffffjfiS5_IjLj3EEiiiiiiiiiiiliiliiiiil,comdat
.Lfunc_end24:
	.size	_ZL18flash_attn_ext_f16ILi128ELi128ELi64ELi1ELb0ELb0EEvPKcS1_S1_S1_S1_PKiPfP15HIP_vector_typeIfLj2EEffffjfiS5_IjLj3EEiiiiiiiiiiiliiliiiiil, .Lfunc_end24-_ZL18flash_attn_ext_f16ILi128ELi128ELi64ELi1ELb0ELb0EEvPKcS1_S1_S1_S1_PKiPfP15HIP_vector_typeIfLj2EEffffjfiS5_IjLj3EEiiiiiiiiiiiliiliiiiil
                                        ; -- End function
	.section	.AMDGPU.csdata,"",@progbits
; Kernel info:
; codeLenInByte = 52
; NumSgprs: 36
; NumVgprs: 37
; ScratchSize: 16
; MemoryBound: 0
; FloatMode: 240
; IeeeMode: 1
; LDSByteSize: 0 bytes/workgroup (compile time only)
; SGPRBlocks: 4
; VGPRBlocks: 4
; NumSGPRsForWavesPerEU: 36
; NumVGPRsForWavesPerEU: 37
; Occupancy: 16
; WaveLimiterHint : 1
; COMPUTE_PGM_RSRC2:SCRATCH_EN: 1
; COMPUTE_PGM_RSRC2:USER_SGPR: 15
; COMPUTE_PGM_RSRC2:TRAP_HANDLER: 0
; COMPUTE_PGM_RSRC2:TGID_X_EN: 1
; COMPUTE_PGM_RSRC2:TGID_Y_EN: 0
; COMPUTE_PGM_RSRC2:TGID_Z_EN: 0
; COMPUTE_PGM_RSRC2:TIDIG_COMP_CNT: 0
	.section	.text._ZL18flash_attn_ext_f16ILi128ELi128ELi64ELi1ELb1ELb0EEvPKcS1_S1_S1_S1_PKiPfP15HIP_vector_typeIfLj2EEffffjfiS5_IjLj3EEiiiiiiiiiiiliiliiiiil,"axG",@progbits,_ZL18flash_attn_ext_f16ILi128ELi128ELi64ELi1ELb1ELb0EEvPKcS1_S1_S1_S1_PKiPfP15HIP_vector_typeIfLj2EEffffjfiS5_IjLj3EEiiiiiiiiiiiliiliiiiil,comdat
	.globl	_ZL18flash_attn_ext_f16ILi128ELi128ELi64ELi1ELb1ELb0EEvPKcS1_S1_S1_S1_PKiPfP15HIP_vector_typeIfLj2EEffffjfiS5_IjLj3EEiiiiiiiiiiiliiliiiiil ; -- Begin function _ZL18flash_attn_ext_f16ILi128ELi128ELi64ELi1ELb1ELb0EEvPKcS1_S1_S1_S1_PKiPfP15HIP_vector_typeIfLj2EEffffjfiS5_IjLj3EEiiiiiiiiiiiliiliiiiil
	.p2align	8
	.type	_ZL18flash_attn_ext_f16ILi128ELi128ELi64ELi1ELb1ELb0EEvPKcS1_S1_S1_S1_PKiPfP15HIP_vector_typeIfLj2EEffffjfiS5_IjLj3EEiiiiiiiiiiiliiliiiiil,@function
_ZL18flash_attn_ext_f16ILi128ELi128ELi64ELi1ELb1ELb0EEvPKcS1_S1_S1_S1_PKiPfP15HIP_vector_typeIfLj2EEffffjfiS5_IjLj3EEiiiiiiiiiiiliiliiiiil: ; @_ZL18flash_attn_ext_f16ILi128ELi128ELi64ELi1ELb1ELb0EEvPKcS1_S1_S1_S1_PKiPfP15HIP_vector_typeIfLj2EEffffjfiS5_IjLj3EEiiiiiiiiiiiliiliiiiil
; %bb.0:
	v_mov_b32_e32 v0, 0x6e3
	s_add_u32 s8, s0, 0xd0
	s_addc_u32 s9, s1, 0
	s_mov_b32 s32, 0
	s_getpc_b64 s[0:1]
	s_add_u32 s0, s0, _ZL14no_device_codePKciS0_iS0_@rel32@lo+4
	s_addc_u32 s1, s1, _ZL14no_device_codePKciS0_iS0_@rel32@hi+12
	s_delay_alu instid0(SALU_CYCLE_1)
	s_swappc_b64 s[30:31], s[0:1]
	.section	.rodata,"a",@progbits
	.p2align	6, 0x0
	.amdhsa_kernel _ZL18flash_attn_ext_f16ILi128ELi128ELi64ELi1ELb1ELb0EEvPKcS1_S1_S1_S1_PKiPfP15HIP_vector_typeIfLj2EEffffjfiS5_IjLj3EEiiiiiiiiiiiliiliiiiil
		.amdhsa_group_segment_fixed_size 0
		.amdhsa_private_segment_fixed_size 16
		.amdhsa_kernarg_size 464
		.amdhsa_user_sgpr_count 15
		.amdhsa_user_sgpr_dispatch_ptr 0
		.amdhsa_user_sgpr_queue_ptr 0
		.amdhsa_user_sgpr_kernarg_segment_ptr 1
		.amdhsa_user_sgpr_dispatch_id 0
		.amdhsa_user_sgpr_private_segment_size 0
		.amdhsa_wavefront_size32 1
		.amdhsa_uses_dynamic_stack 0
		.amdhsa_enable_private_segment 1
		.amdhsa_system_sgpr_workgroup_id_x 1
		.amdhsa_system_sgpr_workgroup_id_y 0
		.amdhsa_system_sgpr_workgroup_id_z 0
		.amdhsa_system_sgpr_workgroup_info 0
		.amdhsa_system_vgpr_workitem_id 0
		.amdhsa_next_free_vgpr 37
		.amdhsa_next_free_sgpr 34
		.amdhsa_reserve_vcc 1
		.amdhsa_float_round_mode_32 0
		.amdhsa_float_round_mode_16_64 0
		.amdhsa_float_denorm_mode_32 3
		.amdhsa_float_denorm_mode_16_64 3
		.amdhsa_dx10_clamp 1
		.amdhsa_ieee_mode 1
		.amdhsa_fp16_overflow 0
		.amdhsa_workgroup_processor_mode 1
		.amdhsa_memory_ordered 1
		.amdhsa_forward_progress 0
		.amdhsa_shared_vgpr_count 0
		.amdhsa_exception_fp_ieee_invalid_op 0
		.amdhsa_exception_fp_denorm_src 0
		.amdhsa_exception_fp_ieee_div_zero 0
		.amdhsa_exception_fp_ieee_overflow 0
		.amdhsa_exception_fp_ieee_underflow 0
		.amdhsa_exception_fp_ieee_inexact 0
		.amdhsa_exception_int_div_zero 0
	.end_amdhsa_kernel
	.section	.text._ZL18flash_attn_ext_f16ILi128ELi128ELi64ELi1ELb1ELb0EEvPKcS1_S1_S1_S1_PKiPfP15HIP_vector_typeIfLj2EEffffjfiS5_IjLj3EEiiiiiiiiiiiliiliiiiil,"axG",@progbits,_ZL18flash_attn_ext_f16ILi128ELi128ELi64ELi1ELb1ELb0EEvPKcS1_S1_S1_S1_PKiPfP15HIP_vector_typeIfLj2EEffffjfiS5_IjLj3EEiiiiiiiiiiiliiliiiiil,comdat
.Lfunc_end25:
	.size	_ZL18flash_attn_ext_f16ILi128ELi128ELi64ELi1ELb1ELb0EEvPKcS1_S1_S1_S1_PKiPfP15HIP_vector_typeIfLj2EEffffjfiS5_IjLj3EEiiiiiiiiiiiliiliiiiil, .Lfunc_end25-_ZL18flash_attn_ext_f16ILi128ELi128ELi64ELi1ELb1ELb0EEvPKcS1_S1_S1_S1_PKiPfP15HIP_vector_typeIfLj2EEffffjfiS5_IjLj3EEiiiiiiiiiiiliiliiiiil
                                        ; -- End function
	.section	.AMDGPU.csdata,"",@progbits
; Kernel info:
; codeLenInByte = 52
; NumSgprs: 36
; NumVgprs: 37
; ScratchSize: 16
; MemoryBound: 0
; FloatMode: 240
; IeeeMode: 1
; LDSByteSize: 0 bytes/workgroup (compile time only)
; SGPRBlocks: 4
; VGPRBlocks: 4
; NumSGPRsForWavesPerEU: 36
; NumVGPRsForWavesPerEU: 37
; Occupancy: 16
; WaveLimiterHint : 1
; COMPUTE_PGM_RSRC2:SCRATCH_EN: 1
; COMPUTE_PGM_RSRC2:USER_SGPR: 15
; COMPUTE_PGM_RSRC2:TRAP_HANDLER: 0
; COMPUTE_PGM_RSRC2:TGID_X_EN: 1
; COMPUTE_PGM_RSRC2:TGID_Y_EN: 0
; COMPUTE_PGM_RSRC2:TGID_Z_EN: 0
; COMPUTE_PGM_RSRC2:TIDIG_COMP_CNT: 0
	.section	.text._ZL33flash_attn_stream_k_fixup_uniformILi128ELi64ELi1EEvPfPK15HIP_vector_typeIfLj2EEiiiiiiS1_IjLj3EES5_S5_,"axG",@progbits,_ZL33flash_attn_stream_k_fixup_uniformILi128ELi64ELi1EEvPfPK15HIP_vector_typeIfLj2EEiiiiiiS1_IjLj3EES5_S5_,comdat
	.globl	_ZL33flash_attn_stream_k_fixup_uniformILi128ELi64ELi1EEvPfPK15HIP_vector_typeIfLj2EEiiiiiiS1_IjLj3EES5_S5_ ; -- Begin function _ZL33flash_attn_stream_k_fixup_uniformILi128ELi64ELi1EEvPfPK15HIP_vector_typeIfLj2EEiiiiiiS1_IjLj3EES5_S5_
	.p2align	8
	.type	_ZL33flash_attn_stream_k_fixup_uniformILi128ELi64ELi1EEvPfPK15HIP_vector_typeIfLj2EEiiiiiiS1_IjLj3EES5_S5_,@function
_ZL33flash_attn_stream_k_fixup_uniformILi128ELi64ELi1EEvPfPK15HIP_vector_typeIfLj2EEiiiiiiS1_IjLj3EES5_S5_: ; @_ZL33flash_attn_stream_k_fixup_uniformILi128ELi64ELi1EEvPfPK15HIP_vector_typeIfLj2EEiiiiiiS1_IjLj3EES5_S5_
; %bb.0:
	s_clause 0x1
	s_load_b256 s[4:11], s[0:1], 0x1c
	s_load_b128 s[16:19], s[0:1], 0x3c
	s_waitcnt lgkmcnt(0)
	s_mul_hi_u32 s2, s7, s13
	s_delay_alu instid0(SALU_CYCLE_1) | instskip(NEXT) | instid1(SALU_CYCLE_1)
	s_add_i32 s2, s13, s2
	s_lshr_b32 s2, s2, s8
	s_delay_alu instid0(SALU_CYCLE_1) | instskip(SKIP_2) | instid1(SALU_CYCLE_1)
	s_mul_i32 s3, s2, s9
	s_load_b64 s[8:9], s[0:1], 0x10
	s_sub_i32 s7, s13, s3
	s_mul_hi_u32 s3, s7, s10
	s_delay_alu instid0(SALU_CYCLE_1) | instskip(NEXT) | instid1(SALU_CYCLE_1)
	s_add_i32 s3, s7, s3
	s_lshr_b32 s3, s3, s11
	s_delay_alu instid0(SALU_CYCLE_1) | instskip(NEXT) | instid1(SALU_CYCLE_1)
	s_mul_i32 s10, s3, s16
	s_sub_i32 s10, s7, s10
	s_delay_alu instid0(SALU_CYCLE_1) | instskip(NEXT) | instid1(SALU_CYCLE_1)
	s_mul_hi_u32 s7, s10, s17
	s_add_i32 s7, s10, s7
	s_delay_alu instid0(SALU_CYCLE_1) | instskip(NEXT) | instid1(SALU_CYCLE_1)
	s_lshr_b32 s7, s7, s18
	s_mul_i32 s11, s7, s19
	s_delay_alu instid0(SALU_CYCLE_1) | instskip(NEXT) | instid1(SALU_CYCLE_1)
	s_sub_i32 s10, s10, s11
	s_lshl_b32 s11, s10, 6
	s_delay_alu instid0(SALU_CYCLE_1) | instskip(SKIP_4) | instid1(SALU_CYCLE_1)
	s_add_i32 s11, s11, s14
	s_waitcnt lgkmcnt(0)
	s_cmp_lt_i32 s11, s8
	s_cselect_b32 s11, -1, 0
	s_add_i32 s12, s7, s15
	s_cmp_lt_i32 s12, s5
	s_cselect_b32 s12, -1, 0
	s_delay_alu instid0(SALU_CYCLE_1) | instskip(NEXT) | instid1(SALU_CYCLE_1)
	s_and_b32 s11, s11, s12
	s_and_not1_b32 vcc_lo, exec_lo, s11
	s_cbranch_vccnz .LBB26_6
; %bb.1:
	s_mul_i32 s2, s2, s8
	s_mul_i32 s5, s3, s5
	s_add_i32 s2, s2, s14
	s_delay_alu instid0(SALU_CYCLE_1) | instskip(NEXT) | instid1(SALU_CYCLE_1)
	s_mul_i32 s2, s2, s9
	s_add_i32 s8, s2, s15
	s_load_b128 s[0:3], s[0:1], 0x0
	s_add_i32 s5, s8, s5
	s_mul_i32 s8, s9, s10
	s_add_i32 s5, s5, s7
	s_lshl_b32 s7, s8, 13
	s_lshl_b32 s5, s5, 7
	s_add_i32 s10, s14, s15
	s_add_i32 s7, s7, s5
	s_mul_i32 s5, s13, s6
	v_or_b32_e32 v1, s7, v0
	s_add_i32 s9, s5, s6
	s_delay_alu instid0(VALU_DEP_1) | instskip(NEXT) | instid1(VALU_DEP_1)
	v_ashrrev_i32_e32 v2, 31, v1
	v_lshlrev_b64 v[1:2], 2, v[1:2]
	s_waitcnt lgkmcnt(0)
	s_delay_alu instid0(VALU_DEP_1) | instskip(NEXT) | instid1(VALU_DEP_2)
	v_add_co_u32 v1, vcc_lo, s0, v1
	v_add_co_ci_u32_e32 v2, vcc_lo, s1, v2, vcc_lo
	s_lshl_b32 s0, s9, 6
	s_delay_alu instid0(SALU_CYCLE_1) | instskip(SKIP_2) | instid1(SALU_CYCLE_1)
	s_add_i32 s0, s10, s0
	global_load_b32 v5, v[1:2], off
	s_sub_i32 s0, s0, 64
	s_ashr_i32 s1, s0, 31
	s_delay_alu instid0(SALU_CYCLE_1) | instskip(NEXT) | instid1(SALU_CYCLE_1)
	s_lshl_b64 s[0:1], s[0:1], 3
	s_add_u32 s0, s2, s0
	s_addc_u32 s1, s3, s1
	s_add_i32 s7, s9, -2
	s_load_b32 s11, s[0:1], 0x4
	s_cmp_lt_i32 s7, s5
	s_cbranch_scc1 .LBB26_4
; %bb.2:
	s_lshl_b32 s14, s4, 8
	s_load_b32 s12, s[0:1], 0x0
	s_ashr_i32 s15, s14, 31
	s_delay_alu instid0(SALU_CYCLE_1) | instskip(NEXT) | instid1(SALU_CYCLE_1)
	s_lshl_b64 s[0:1], s[14:15], 2
	s_add_u32 s7, s2, s0
	s_addc_u32 s8, s3, s1
	s_add_i32 s13, s13, 1
	s_lshl_b32 s1, s10, 7
	s_mul_i32 s0, s6, s13
	s_delay_alu instid0(SALU_CYCLE_1)
	s_lshl_b32 s6, s0, 13
	s_lshl_b32 s0, s0, 6
	s_add_i32 s1, s1, s6
	s_add_i32 s0, s10, s0
	v_or_b32_e32 v0, s1, v0
	s_lshl_b32 s1, s4, 6
	s_waitcnt lgkmcnt(0)
	v_mov_b32_e32 v6, s11
	s_add_i32 s0, s0, s1
	s_add_i32 s4, s9, -1
	v_dual_mov_b32 v0, s12 :: v_dual_add_nc_u32 v3, 0xffffc000, v0
	s_addk_i32 s0, 0xff80
.LBB26_3:                               ; =>This Inner Loop Header: Depth=1
	s_delay_alu instid0(VALU_DEP_1) | instskip(SKIP_1) | instid1(SALU_CYCLE_1)
	v_ashrrev_i32_e32 v4, 31, v3
	s_ashr_i32 s1, s0, 31
	s_lshl_b64 s[10:11], s[0:1], 3
	s_delay_alu instid0(SALU_CYCLE_1) | instskip(NEXT) | instid1(VALU_DEP_1)
	s_add_u32 s10, s2, s10
	v_lshlrev_b64 v[7:8], 2, v[3:4]
	s_addc_u32 s11, s3, s11
	s_add_i32 s4, s4, -1
	s_sub_i32 s0, s0, 64
	s_cmp_le_i32 s4, s5
	s_load_b64 s[10:11], s[10:11], 0x0
	v_add_co_u32 v7, vcc_lo, s7, v7
	v_add_co_ci_u32_e32 v8, vcc_lo, s8, v8, vcc_lo
	global_load_b32 v4, v[7:8], off
	v_max_f32_e32 v7, v0, v0
	s_waitcnt lgkmcnt(0)
	v_max_f32_e64 v8, s10, s10
	s_delay_alu instid0(VALU_DEP_1) | instskip(NEXT) | instid1(VALU_DEP_1)
	v_max_f32_e32 v7, v7, v8
	v_sub_f32_e32 v8, s10, v7
	s_delay_alu instid0(VALU_DEP_1) | instskip(NEXT) | instid1(VALU_DEP_1)
	v_dual_sub_f32 v0, v0, v7 :: v_dual_mul_f32 v9, 0x3fb8aa3b, v8
	v_fma_f32 v10, 0x3fb8aa3b, v8, -v9
	v_rndne_f32_e32 v11, v9
	s_delay_alu instid0(VALU_DEP_3) | instskip(NEXT) | instid1(VALU_DEP_2)
	v_mul_f32_e32 v12, 0x3fb8aa3b, v0
	v_dual_fmac_f32 v10, 0x32a5705f, v8 :: v_dual_sub_f32 v9, v9, v11
	v_cvt_i32_f32_e32 v11, v11
	s_delay_alu instid0(VALU_DEP_3) | instskip(SKIP_1) | instid1(VALU_DEP_4)
	v_fma_f32 v13, 0x3fb8aa3b, v0, -v12
	v_rndne_f32_e32 v14, v12
	v_add_f32_e32 v9, v9, v10
	v_cmp_ngt_f32_e32 vcc_lo, 0xc2ce8ed0, v8
	s_delay_alu instid0(VALU_DEP_3) | instskip(NEXT) | instid1(VALU_DEP_3)
	v_sub_f32_e32 v10, v12, v14
	v_exp_f32_e32 v9, v9
	s_waitcnt_depctr 0xfff
	v_ldexp_f32 v9, v9, v11
	v_cvt_i32_f32_e32 v11, v14
	s_delay_alu instid0(VALU_DEP_2) | instskip(SKIP_1) | instid1(VALU_DEP_2)
	v_cndmask_b32_e32 v9, 0, v9, vcc_lo
	v_cmp_nlt_f32_e32 vcc_lo, 0x42b17218, v8
	v_cndmask_b32_e32 v9, 0x7f800000, v9, vcc_lo
	v_cmp_ngt_f32_e32 vcc_lo, 0xc2ce8ed0, v0
	v_fmac_f32_e32 v13, 0x32a5705f, v0
	s_delay_alu instid0(VALU_DEP_1) | instskip(NEXT) | instid1(VALU_DEP_1)
	v_add_f32_e32 v10, v10, v13
	v_exp_f32_e32 v10, v10
	s_waitcnt_depctr 0xfff
	v_ldexp_f32 v10, v10, v11
	s_delay_alu instid0(VALU_DEP_1)
	v_dual_mov_b32 v11, v6 :: v_dual_cndmask_b32 v10, 0, v10
	v_cmp_le_f32_e32 vcc_lo, 0xc1a00000, v8
	s_waitcnt vmcnt(1)
	v_dual_cndmask_b32 v8, 0, v9 :: v_dual_mov_b32 v9, v5
	v_cmp_nlt_f32_e32 vcc_lo, 0x42b17218, v0
	v_cndmask_b32_e32 v5, 0x7f800000, v10, vcc_lo
	s_delay_alu instid0(VALU_DEP_3) | instskip(SKIP_2) | instid1(VALU_DEP_3)
	v_mul_f32_e32 v10, s11, v8
	v_cmp_le_f32_e32 vcc_lo, 0xc1a00000, v0
	v_mov_b32_e32 v0, v7
	v_mov_b32_e32 v6, v10
	s_waitcnt vmcnt(0)
	v_dual_cndmask_b32 v12, 0, v5 :: v_dual_mul_f32 v5, v4, v8
	s_delay_alu instid0(VALU_DEP_1) | instskip(NEXT) | instid1(VALU_DEP_2)
	v_dual_fmac_f32 v6, v11, v12 :: v_dual_add_nc_u32 v3, 0xffffe000, v3
	v_fmac_f32_e32 v5, v9, v12
	s_cbranch_scc0 .LBB26_3
	s_branch .LBB26_5
.LBB26_4:
	s_waitcnt lgkmcnt(0)
	v_mov_b32_e32 v6, s11
.LBB26_5:
	s_waitcnt vmcnt(0)
	s_delay_alu instid0(VALU_DEP_1) | instskip(NEXT) | instid1(VALU_DEP_1)
	v_div_scale_f32 v0, null, v6, v6, v5
	v_rcp_f32_e32 v3, v0
	s_waitcnt_depctr 0xfff
	v_fma_f32 v4, -v0, v3, 1.0
	s_delay_alu instid0(VALU_DEP_1) | instskip(SKIP_1) | instid1(VALU_DEP_1)
	v_fmac_f32_e32 v3, v4, v3
	v_div_scale_f32 v4, vcc_lo, v5, v6, v5
	v_mul_f32_e32 v7, v4, v3
	s_delay_alu instid0(VALU_DEP_1) | instskip(NEXT) | instid1(VALU_DEP_1)
	v_fma_f32 v8, -v0, v7, v4
	v_fmac_f32_e32 v7, v8, v3
	s_delay_alu instid0(VALU_DEP_1) | instskip(NEXT) | instid1(VALU_DEP_1)
	v_fma_f32 v0, -v0, v7, v4
	v_div_fmas_f32 v0, v0, v3, v7
	s_delay_alu instid0(VALU_DEP_1)
	v_div_fixup_f32 v0, v0, v6, v5
	global_store_b32 v[1:2], v0, off
.LBB26_6:
	s_nop 0
	s_sendmsg sendmsg(MSG_DEALLOC_VGPRS)
	s_endpgm
	.section	.rodata,"a",@progbits
	.p2align	6, 0x0
	.amdhsa_kernel _ZL33flash_attn_stream_k_fixup_uniformILi128ELi64ELi1EEvPfPK15HIP_vector_typeIfLj2EEiiiiiiS1_IjLj3EES5_S5_
		.amdhsa_group_segment_fixed_size 0
		.amdhsa_private_segment_fixed_size 0
		.amdhsa_kernarg_size 76
		.amdhsa_user_sgpr_count 13
		.amdhsa_user_sgpr_dispatch_ptr 0
		.amdhsa_user_sgpr_queue_ptr 0
		.amdhsa_user_sgpr_kernarg_segment_ptr 1
		.amdhsa_user_sgpr_dispatch_id 0
		.amdhsa_user_sgpr_private_segment_size 0
		.amdhsa_wavefront_size32 1
		.amdhsa_uses_dynamic_stack 0
		.amdhsa_enable_private_segment 0
		.amdhsa_system_sgpr_workgroup_id_x 1
		.amdhsa_system_sgpr_workgroup_id_y 1
		.amdhsa_system_sgpr_workgroup_id_z 1
		.amdhsa_system_sgpr_workgroup_info 0
		.amdhsa_system_vgpr_workitem_id 0
		.amdhsa_next_free_vgpr 15
		.amdhsa_next_free_sgpr 20
		.amdhsa_reserve_vcc 1
		.amdhsa_float_round_mode_32 0
		.amdhsa_float_round_mode_16_64 0
		.amdhsa_float_denorm_mode_32 3
		.amdhsa_float_denorm_mode_16_64 3
		.amdhsa_dx10_clamp 1
		.amdhsa_ieee_mode 1
		.amdhsa_fp16_overflow 0
		.amdhsa_workgroup_processor_mode 1
		.amdhsa_memory_ordered 1
		.amdhsa_forward_progress 0
		.amdhsa_shared_vgpr_count 0
		.amdhsa_exception_fp_ieee_invalid_op 0
		.amdhsa_exception_fp_denorm_src 0
		.amdhsa_exception_fp_ieee_div_zero 0
		.amdhsa_exception_fp_ieee_overflow 0
		.amdhsa_exception_fp_ieee_underflow 0
		.amdhsa_exception_fp_ieee_inexact 0
		.amdhsa_exception_int_div_zero 0
	.end_amdhsa_kernel
	.section	.text._ZL33flash_attn_stream_k_fixup_uniformILi128ELi64ELi1EEvPfPK15HIP_vector_typeIfLj2EEiiiiiiS1_IjLj3EES5_S5_,"axG",@progbits,_ZL33flash_attn_stream_k_fixup_uniformILi128ELi64ELi1EEvPfPK15HIP_vector_typeIfLj2EEiiiiiiS1_IjLj3EES5_S5_,comdat
.Lfunc_end26:
	.size	_ZL33flash_attn_stream_k_fixup_uniformILi128ELi64ELi1EEvPfPK15HIP_vector_typeIfLj2EEiiiiiiS1_IjLj3EES5_S5_, .Lfunc_end26-_ZL33flash_attn_stream_k_fixup_uniformILi128ELi64ELi1EEvPfPK15HIP_vector_typeIfLj2EEiiiiiiS1_IjLj3EES5_S5_
                                        ; -- End function
	.section	.AMDGPU.csdata,"",@progbits
; Kernel info:
; codeLenInByte = 976
; NumSgprs: 22
; NumVgprs: 15
; ScratchSize: 0
; MemoryBound: 0
; FloatMode: 240
; IeeeMode: 1
; LDSByteSize: 0 bytes/workgroup (compile time only)
; SGPRBlocks: 2
; VGPRBlocks: 1
; NumSGPRsForWavesPerEU: 22
; NumVGPRsForWavesPerEU: 15
; Occupancy: 16
; WaveLimiterHint : 0
; COMPUTE_PGM_RSRC2:SCRATCH_EN: 0
; COMPUTE_PGM_RSRC2:USER_SGPR: 13
; COMPUTE_PGM_RSRC2:TRAP_HANDLER: 0
; COMPUTE_PGM_RSRC2:TGID_X_EN: 1
; COMPUTE_PGM_RSRC2:TGID_Y_EN: 1
; COMPUTE_PGM_RSRC2:TGID_Z_EN: 1
; COMPUTE_PGM_RSRC2:TIDIG_COMP_CNT: 0
	.section	.text._ZL33flash_attn_stream_k_fixup_generalILi128ELi64ELi1EEvPfPK15HIP_vector_typeIfLj2EEiiiiS1_IjLj3EES5_S5_S5_,"axG",@progbits,_ZL33flash_attn_stream_k_fixup_generalILi128ELi64ELi1EEvPfPK15HIP_vector_typeIfLj2EEiiiiS1_IjLj3EES5_S5_S5_,comdat
	.globl	_ZL33flash_attn_stream_k_fixup_generalILi128ELi64ELi1EEvPfPK15HIP_vector_typeIfLj2EEiiiiS1_IjLj3EES5_S5_S5_ ; -- Begin function _ZL33flash_attn_stream_k_fixup_generalILi128ELi64ELi1EEvPfPK15HIP_vector_typeIfLj2EEiiiiS1_IjLj3EES5_S5_S5_
	.p2align	8
	.type	_ZL33flash_attn_stream_k_fixup_generalILi128ELi64ELi1EEvPfPK15HIP_vector_typeIfLj2EEiiiiS1_IjLj3EES5_S5_S5_,@function
_ZL33flash_attn_stream_k_fixup_generalILi128ELi64ELi1EEvPfPK15HIP_vector_typeIfLj2EEiiiiS1_IjLj3EES5_S5_S5_: ; @_ZL33flash_attn_stream_k_fixup_generalILi128ELi64ELi1EEvPfPK15HIP_vector_typeIfLj2EEiiiiS1_IjLj3EES5_S5_S5_
; %bb.0:
	s_clause 0x1
	s_load_b128 s[4:7], s[0:1], 0x10
	s_load_b32 s20, s[0:1], 0x50
	s_mov_b32 s2, 0
	s_waitcnt lgkmcnt(0)
	s_mul_hi_i32 s3, s7, s13
	s_mul_i32 s12, s7, s13
	s_cmp_lg_u64 s[2:3], 0
	s_cbranch_scc0 .LBB27_21
; %bb.1:
	v_cvt_f32_ubyte0_e32 v1, 0
	v_cvt_f32_u32_e32 v2, s20
	s_sub_u32 s10, 0, s20
	s_subb_u32 s11, 0, 0
	s_delay_alu instid0(VALU_DEP_1) | instskip(NEXT) | instid1(VALU_DEP_1)
	v_fmamk_f32 v1, v1, 0x4f800000, v2
	v_rcp_f32_e32 v1, v1
	s_waitcnt_depctr 0xfff
	v_mul_f32_e32 v1, 0x5f7ffffc, v1
	s_delay_alu instid0(VALU_DEP_1) | instskip(NEXT) | instid1(VALU_DEP_1)
	v_mul_f32_e32 v2, 0x2f800000, v1
	v_trunc_f32_e32 v2, v2
	s_delay_alu instid0(VALU_DEP_1) | instskip(SKIP_1) | instid1(VALU_DEP_2)
	v_fmamk_f32 v1, v2, 0xcf800000, v1
	v_cvt_u32_f32_e32 v2, v2
	v_cvt_u32_f32_e32 v1, v1
	s_delay_alu instid0(VALU_DEP_2) | instskip(NEXT) | instid1(VALU_DEP_2)
	v_readfirstlane_b32 s8, v2
	v_readfirstlane_b32 s9, v1
	s_delay_alu instid0(VALU_DEP_2) | instskip(NEXT) | instid1(VALU_DEP_1)
	s_mul_i32 s16, s10, s8
	s_mul_hi_u32 s18, s10, s9
	s_mul_i32 s17, s11, s9
	s_add_i32 s16, s18, s16
	s_mul_i32 s19, s10, s9
	s_add_i32 s16, s16, s17
	s_mul_hi_u32 s18, s9, s19
	s_mul_hi_u32 s21, s8, s19
	s_mul_i32 s17, s8, s19
	s_mul_hi_u32 s19, s9, s16
	s_mul_i32 s9, s9, s16
	s_mul_hi_u32 s22, s8, s16
	s_add_u32 s9, s18, s9
	s_addc_u32 s18, 0, s19
	s_add_u32 s9, s9, s17
	s_mul_i32 s16, s8, s16
	s_addc_u32 s9, s18, s21
	s_addc_u32 s17, s22, 0
	s_add_u32 s9, s9, s16
	s_addc_u32 s16, 0, s17
	v_add_co_u32 v1, s9, v1, s9
	s_delay_alu instid0(VALU_DEP_1) | instskip(SKIP_1) | instid1(VALU_DEP_1)
	s_cmp_lg_u32 s9, 0
	s_addc_u32 s8, s8, s16
	v_readfirstlane_b32 s9, v1
	s_mul_i32 s16, s10, s8
	s_delay_alu instid0(VALU_DEP_1)
	s_mul_hi_u32 s17, s10, s9
	s_mul_i32 s11, s11, s9
	s_add_i32 s16, s17, s16
	s_mul_i32 s10, s10, s9
	s_add_i32 s16, s16, s11
	s_mul_hi_u32 s17, s8, s10
	s_mul_i32 s18, s8, s10
	s_mul_hi_u32 s10, s9, s10
	s_mul_hi_u32 s19, s9, s16
	s_mul_i32 s9, s9, s16
	s_mul_hi_u32 s11, s8, s16
	s_add_u32 s9, s10, s9
	s_addc_u32 s10, 0, s19
	s_add_u32 s9, s9, s18
	s_mul_i32 s16, s8, s16
	s_addc_u32 s9, s10, s17
	s_addc_u32 s10, s11, 0
	s_add_u32 s9, s9, s16
	s_addc_u32 s10, 0, s10
	v_add_co_u32 v1, s9, v1, s9
	s_delay_alu instid0(VALU_DEP_1) | instskip(SKIP_2) | instid1(SALU_CYCLE_1)
	s_cmp_lg_u32 s9, 0
	s_addc_u32 s16, s8, s10
	s_ashr_i32 s8, s3, 31
	s_add_u32 s10, s12, s8
	s_addc_u32 s11, s3, s8
	v_readfirstlane_b32 s3, v1
	s_mov_b32 s9, s8
	s_delay_alu instid0(SALU_CYCLE_1) | instskip(NEXT) | instid1(SALU_CYCLE_1)
	s_xor_b64 s[10:11], s[10:11], s[8:9]
	s_mul_i32 s18, s10, s16
	s_delay_alu instid0(VALU_DEP_1)
	s_mul_hi_u32 s19, s10, s3
	s_mul_hi_u32 s17, s10, s16
	;; [unrolled: 1-line block ×3, first 2 shown]
	s_mul_i32 s3, s11, s3
	s_add_u32 s18, s19, s18
	s_addc_u32 s17, 0, s17
	s_mul_hi_u32 s21, s11, s16
	s_add_u32 s3, s18, s3
	s_mul_i32 s16, s11, s16
	s_addc_u32 s3, s17, s22
	s_addc_u32 s17, s21, 0
	s_add_u32 s3, s3, s16
	s_addc_u32 s16, 0, s17
	s_mul_i32 s18, s20, s3
	s_add_u32 s17, s3, 1
	v_sub_co_u32 v1, s10, s10, s18
	s_mul_hi_u32 s18, s20, s3
	s_addc_u32 s19, s16, 0
	s_mul_i32 s21, s20, s16
	s_delay_alu instid0(VALU_DEP_1)
	v_sub_co_u32 v2, s22, v1, s20
	s_add_u32 s23, s3, 2
	s_addc_u32 s24, s16, 0
	s_add_i32 s18, s18, s21
	s_cmp_lg_u32 s10, 0
	v_readfirstlane_b32 s10, v2
	s_subb_u32 s11, s11, s18
	s_cmp_lg_u32 s22, 0
	s_subb_u32 s18, s11, 0
	s_delay_alu instid0(VALU_DEP_1) | instskip(SKIP_4) | instid1(SALU_CYCLE_1)
	s_cmp_ge_u32 s10, s20
	s_cselect_b32 s10, -1, 0
	s_cmp_eq_u32 s18, 0
	v_readfirstlane_b32 s18, v1
	s_cselect_b32 s10, s10, -1
	s_cmp_lg_u32 s10, 0
	s_cselect_b32 s10, s23, s17
	s_cselect_b32 s17, s24, s19
	s_cmp_ge_u32 s18, s20
	s_cselect_b32 s18, -1, 0
	s_cmp_eq_u32 s11, 0
	s_cselect_b32 s11, s18, -1
	s_delay_alu instid0(SALU_CYCLE_1) | instskip(SKIP_2) | instid1(SALU_CYCLE_1)
	s_cmp_lg_u32 s11, 0
	s_cselect_b32 s11, s17, s16
	s_cselect_b32 s10, s10, s3
	s_xor_b64 s[10:11], s[10:11], s[8:9]
	s_delay_alu instid0(SALU_CYCLE_1)
	s_sub_u32 s16, s10, s8
	s_load_b128 s[8:11], s[0:1], 0x44
	s_and_not1_b32 vcc_lo, exec_lo, s2
	s_cbranch_vccnz .LBB27_3
.LBB27_2:
	v_cvt_f32_u32_e32 v1, s20
	s_sub_i32 s3, 0, s20
	s_delay_alu instid0(VALU_DEP_1) | instskip(SKIP_2) | instid1(VALU_DEP_1)
	v_rcp_iflag_f32_e32 v1, v1
	s_waitcnt_depctr 0xfff
	v_mul_f32_e32 v1, 0x4f7ffffe, v1
	v_cvt_u32_f32_e32 v1, v1
	s_delay_alu instid0(VALU_DEP_1) | instskip(NEXT) | instid1(VALU_DEP_1)
	v_readfirstlane_b32 s2, v1
	s_mul_i32 s3, s3, s2
	s_delay_alu instid0(SALU_CYCLE_1) | instskip(NEXT) | instid1(SALU_CYCLE_1)
	s_mul_hi_u32 s3, s2, s3
	s_add_i32 s2, s2, s3
	s_delay_alu instid0(SALU_CYCLE_1) | instskip(NEXT) | instid1(SALU_CYCLE_1)
	s_mul_hi_u32 s2, s12, s2
	s_mul_i32 s3, s2, s20
	s_waitcnt lgkmcnt(0)
	s_add_i32 s11, s2, 1
	s_sub_i32 s3, s12, s3
	s_delay_alu instid0(SALU_CYCLE_1)
	s_sub_i32 s12, s3, s20
	s_cmp_ge_u32 s3, s20
	s_cselect_b32 s2, s11, s2
	s_cselect_b32 s3, s12, s3
	s_add_i32 s11, s2, 1
	s_cmp_ge_u32 s3, s20
	s_cselect_b32 s16, s11, s2
.LBB27_3:
	s_waitcnt lgkmcnt(0)
	s_add_i32 s11, s13, 1
	s_mov_b32 s2, 0
	s_mul_hi_i32 s3, s7, s11
	s_mul_i32 s11, s7, s11
	s_cmp_lg_u64 s[2:3], 0
	s_cbranch_scc0 .LBB27_22
; %bb.4:
	v_cvt_f32_ubyte0_e32 v1, 0
	v_cvt_f32_u32_e32 v2, s20
	s_sub_u32 s18, 0, s20
	s_subb_u32 s19, 0, 0
	s_delay_alu instid0(VALU_DEP_1) | instskip(NEXT) | instid1(VALU_DEP_1)
	v_fmamk_f32 v1, v1, 0x4f800000, v2
	v_rcp_f32_e32 v1, v1
	s_waitcnt_depctr 0xfff
	v_mul_f32_e32 v1, 0x5f7ffffc, v1
	s_delay_alu instid0(VALU_DEP_1) | instskip(NEXT) | instid1(VALU_DEP_1)
	v_mul_f32_e32 v2, 0x2f800000, v1
	v_trunc_f32_e32 v2, v2
	s_delay_alu instid0(VALU_DEP_1) | instskip(SKIP_1) | instid1(VALU_DEP_2)
	v_fmamk_f32 v1, v2, 0xcf800000, v1
	v_cvt_u32_f32_e32 v2, v2
	v_cvt_u32_f32_e32 v1, v1
	s_delay_alu instid0(VALU_DEP_2) | instskip(NEXT) | instid1(VALU_DEP_2)
	v_readfirstlane_b32 s12, v2
	v_readfirstlane_b32 s17, v1
	s_delay_alu instid0(VALU_DEP_2) | instskip(NEXT) | instid1(VALU_DEP_1)
	s_mul_i32 s21, s18, s12
	s_mul_hi_u32 s23, s18, s17
	s_mul_i32 s22, s19, s17
	s_add_i32 s21, s23, s21
	s_mul_i32 s24, s18, s17
	s_add_i32 s21, s21, s22
	s_mul_hi_u32 s23, s17, s24
	s_mul_hi_u32 s25, s12, s24
	s_mul_i32 s22, s12, s24
	s_mul_hi_u32 s24, s17, s21
	s_mul_i32 s17, s17, s21
	s_mul_hi_u32 s26, s12, s21
	s_add_u32 s17, s23, s17
	s_addc_u32 s23, 0, s24
	s_add_u32 s17, s17, s22
	s_mul_i32 s21, s12, s21
	s_addc_u32 s17, s23, s25
	s_addc_u32 s22, s26, 0
	s_add_u32 s17, s17, s21
	s_addc_u32 s21, 0, s22
	v_add_co_u32 v1, s17, v1, s17
	s_delay_alu instid0(VALU_DEP_1) | instskip(SKIP_1) | instid1(VALU_DEP_1)
	s_cmp_lg_u32 s17, 0
	s_addc_u32 s12, s12, s21
	v_readfirstlane_b32 s17, v1
	s_mul_i32 s21, s18, s12
	s_delay_alu instid0(VALU_DEP_1)
	s_mul_hi_u32 s22, s18, s17
	s_mul_i32 s19, s19, s17
	s_add_i32 s21, s22, s21
	s_mul_i32 s18, s18, s17
	s_add_i32 s21, s21, s19
	s_mul_hi_u32 s22, s12, s18
	s_mul_i32 s23, s12, s18
	s_mul_hi_u32 s18, s17, s18
	s_mul_hi_u32 s24, s17, s21
	s_mul_i32 s17, s17, s21
	s_mul_hi_u32 s19, s12, s21
	s_add_u32 s17, s18, s17
	s_addc_u32 s18, 0, s24
	s_add_u32 s17, s17, s23
	s_mul_i32 s21, s12, s21
	s_addc_u32 s17, s18, s22
	s_addc_u32 s18, s19, 0
	s_add_u32 s17, s17, s21
	s_addc_u32 s18, 0, s18
	v_add_co_u32 v1, s17, v1, s17
	s_delay_alu instid0(VALU_DEP_1) | instskip(SKIP_2) | instid1(SALU_CYCLE_1)
	s_cmp_lg_u32 s17, 0
	s_addc_u32 s12, s12, s18
	s_ashr_i32 s18, s3, 31
	s_add_u32 s22, s11, s18
	s_addc_u32 s23, s3, s18
	v_readfirstlane_b32 s3, v1
	s_mov_b32 s19, s18
	s_delay_alu instid0(SALU_CYCLE_1) | instskip(NEXT) | instid1(SALU_CYCLE_1)
	s_xor_b64 s[22:23], s[22:23], s[18:19]
	s_mul_i32 s21, s22, s12
	s_delay_alu instid0(VALU_DEP_1)
	s_mul_hi_u32 s24, s22, s3
	s_mul_hi_u32 s17, s22, s12
	;; [unrolled: 1-line block ×3, first 2 shown]
	s_mul_i32 s3, s23, s3
	s_add_u32 s21, s24, s21
	s_addc_u32 s17, 0, s17
	s_mul_hi_u32 s25, s23, s12
	s_add_u32 s3, s21, s3
	s_mul_i32 s12, s23, s12
	s_addc_u32 s3, s17, s26
	s_addc_u32 s17, s25, 0
	s_add_u32 s3, s3, s12
	s_addc_u32 s12, 0, s17
	s_mul_i32 s21, s20, s3
	s_add_u32 s17, s3, 1
	v_sub_co_u32 v1, s21, s22, s21
	s_mul_hi_u32 s22, s20, s3
	s_addc_u32 s24, s12, 0
	s_mul_i32 s25, s20, s12
	s_delay_alu instid0(VALU_DEP_1)
	v_sub_co_u32 v2, s26, v1, s20
	s_add_u32 s27, s3, 2
	s_addc_u32 s28, s12, 0
	s_add_i32 s22, s22, s25
	s_cmp_lg_u32 s21, 0
	v_readfirstlane_b32 s21, v2
	s_subb_u32 s22, s23, s22
	s_cmp_lg_u32 s26, 0
	s_subb_u32 s23, s22, 0
	s_delay_alu instid0(VALU_DEP_1) | instskip(SKIP_4) | instid1(SALU_CYCLE_1)
	s_cmp_ge_u32 s21, s20
	s_cselect_b32 s21, -1, 0
	s_cmp_eq_u32 s23, 0
	v_readfirstlane_b32 s23, v1
	s_cselect_b32 s21, s21, -1
	s_cmp_lg_u32 s21, 0
	s_cselect_b32 s17, s27, s17
	s_cselect_b32 s21, s28, s24
	s_cmp_ge_u32 s23, s20
	s_cselect_b32 s23, -1, 0
	s_cmp_eq_u32 s22, 0
	s_cselect_b32 s22, s23, -1
	s_delay_alu instid0(SALU_CYCLE_1) | instskip(SKIP_2) | instid1(SALU_CYCLE_1)
	s_cmp_lg_u32 s22, 0
	s_cselect_b32 s23, s21, s12
	s_cselect_b32 s22, s17, s3
	s_xor_b64 s[22:23], s[22:23], s[18:19]
	s_delay_alu instid0(SALU_CYCLE_1)
	s_sub_u32 s18, s22, s18
	s_and_not1_b32 vcc_lo, exec_lo, s2
	s_cbranch_vccnz .LBB27_6
.LBB27_5:
	v_cvt_f32_u32_e32 v1, s20
	s_sub_i32 s3, 0, s20
	s_delay_alu instid0(VALU_DEP_1) | instskip(SKIP_2) | instid1(VALU_DEP_1)
	v_rcp_iflag_f32_e32 v1, v1
	s_waitcnt_depctr 0xfff
	v_mul_f32_e32 v1, 0x4f7ffffe, v1
	v_cvt_u32_f32_e32 v1, v1
	s_delay_alu instid0(VALU_DEP_1) | instskip(NEXT) | instid1(VALU_DEP_1)
	v_readfirstlane_b32 s2, v1
	s_mul_i32 s3, s3, s2
	s_delay_alu instid0(SALU_CYCLE_1) | instskip(NEXT) | instid1(SALU_CYCLE_1)
	s_mul_hi_u32 s3, s2, s3
	s_add_i32 s2, s2, s3
	s_delay_alu instid0(SALU_CYCLE_1) | instskip(NEXT) | instid1(SALU_CYCLE_1)
	s_mul_hi_u32 s2, s11, s2
	s_mul_i32 s3, s2, s20
	s_delay_alu instid0(SALU_CYCLE_1)
	s_sub_i32 s3, s11, s3
	s_add_i32 s11, s2, 1
	s_sub_i32 s12, s3, s20
	s_cmp_ge_u32 s3, s20
	s_cselect_b32 s2, s11, s2
	s_cselect_b32 s3, s12, s3
	s_add_i32 s11, s2, 1
	s_cmp_ge_u32 s3, s20
	s_cselect_b32 s18, s11, s2
.LBB27_6:
	s_delay_alu instid0(SALU_CYCLE_1) | instskip(SKIP_3) | instid1(SALU_CYCLE_1)
	s_cmp_eq_u32 s16, s18
	s_mul_hi_u32 s2, s16, s8
	s_cselect_b32 s3, -1, 0
	s_add_i32 s2, s2, s16
	s_lshr_b32 s11, s2, s9
	s_delay_alu instid0(SALU_CYCLE_1) | instskip(NEXT) | instid1(SALU_CYCLE_1)
	s_mul_i32 s2, s11, s10
	s_cmp_eq_u32 s2, s16
	s_mul_hi_u32 s2, s18, s8
	s_cselect_b32 s12, -1, 0
	s_add_i32 s2, s2, s18
	s_delay_alu instid0(SALU_CYCLE_1) | instskip(NEXT) | instid1(SALU_CYCLE_1)
	s_lshr_b32 s2, s2, s9
	s_cmp_eq_u32 s11, s2
	s_mul_i32 s2, s2, s10
	s_cselect_b32 s17, -1, 0
	s_cmp_lg_u32 s2, s18
	s_cselect_b32 s2, -1, 0
	s_or_b32 s3, s3, s12
	s_and_b32 s2, s17, s2
	s_delay_alu instid0(SALU_CYCLE_1) | instskip(NEXT) | instid1(SALU_CYCLE_1)
	s_or_b32 s2, s3, s2
	s_and_b32 vcc_lo, exec_lo, s2
	s_cbranch_vccnz .LBB27_24
; %bb.7:
	s_load_b256 s[24:31], s[0:1], 0x20
	s_waitcnt lgkmcnt(0)
	s_mul_hi_u32 s2, s16, s24
	s_delay_alu instid0(SALU_CYCLE_1) | instskip(NEXT) | instid1(SALU_CYCLE_1)
	s_add_i32 s2, s2, s16
	s_lshr_b32 s18, s2, s25
	s_load_b32 s2, s[0:1], 0x40
	s_mul_i32 s3, s18, s26
	s_delay_alu instid0(SALU_CYCLE_1) | instskip(NEXT) | instid1(SALU_CYCLE_1)
	s_sub_i32 s3, s16, s3
	s_mul_hi_u32 s12, s3, s27
	s_delay_alu instid0(SALU_CYCLE_1) | instskip(NEXT) | instid1(SALU_CYCLE_1)
	s_add_i32 s12, s3, s12
	s_lshr_b32 s21, s12, s28
	s_delay_alu instid0(SALU_CYCLE_1) | instskip(NEXT) | instid1(SALU_CYCLE_1)
	s_mul_i32 s12, s21, s29
	s_sub_i32 s3, s3, s12
	s_delay_alu instid0(SALU_CYCLE_1) | instskip(NEXT) | instid1(SALU_CYCLE_1)
	s_mul_hi_u32 s12, s3, s30
	s_add_i32 s12, s3, s12
	s_delay_alu instid0(SALU_CYCLE_1) | instskip(SKIP_3) | instid1(SALU_CYCLE_1)
	s_lshr_b32 s22, s12, s31
	s_mov_b32 s12, 0
	s_waitcnt lgkmcnt(0)
	s_mul_i32 s2, s22, s2
	s_sub_i32 s2, s3, s2
	s_delay_alu instid0(SALU_CYCLE_1) | instskip(NEXT) | instid1(SALU_CYCLE_1)
	s_mul_hi_u32 s3, s2, s8
	s_add_i32 s2, s2, s3
	s_delay_alu instid0(SALU_CYCLE_1) | instskip(NEXT) | instid1(SALU_CYCLE_1)
	s_lshr_b32 s23, s2, s9
	s_lshl_b32 s2, s23, 6
	s_delay_alu instid0(SALU_CYCLE_1) | instskip(NEXT) | instid1(SALU_CYCLE_1)
	s_add_i32 s2, s2, s14
	s_cmp_lt_i32 s2, s4
	s_cselect_b32 s2, -1, 0
	s_add_i32 s3, s22, s15
	s_delay_alu instid0(SALU_CYCLE_1) | instskip(SKIP_1) | instid1(SALU_CYCLE_1)
	s_cmp_lt_i32 s3, s6
	s_cselect_b32 s3, -1, 0
	s_and_b32 s2, s2, s3
	s_delay_alu instid0(SALU_CYCLE_1)
	s_and_not1_b32 vcc_lo, exec_lo, s2
	s_cbranch_vccnz .LBB27_24
; %bb.8:
	s_load_b128 s[0:3], s[0:1], 0x0
	s_lshl_b32 s24, s20, 8
	s_mov_b32 s25, s12
	s_add_i32 s17, s14, s15
	s_lshl_b64 s[24:25], s[24:25], 2
	s_mul_i32 s4, s18, s4
	s_mul_i32 s21, s21, s6
	v_cvt_f32_ubyte0_e32 v4, 0
	v_cvt_f32_u32_e32 v5, s20
	s_waitcnt lgkmcnt(0)
	s_add_u32 s18, s2, s24
	s_addc_u32 s19, s3, s25
	s_add_i32 s4, s4, s14
	s_delay_alu instid0(SALU_CYCLE_1) | instskip(SKIP_4) | instid1(SALU_CYCLE_1)
	s_mul_i32 s4, s4, s5
	s_mul_i32 s5, s5, s23
	s_add_i32 s4, s4, s15
	s_lshl_b32 s5, s5, 13
	s_add_i32 s4, s4, s21
	s_add_i32 s4, s4, s22
	s_delay_alu instid0(SALU_CYCLE_1) | instskip(NEXT) | instid1(SALU_CYCLE_1)
	s_lshl_b32 s4, s4, 7
	s_add_i32 s5, s5, s4
	s_delay_alu instid0(SALU_CYCLE_1) | instskip(SKIP_1) | instid1(VALU_DEP_2)
	v_or_b32_e32 v1, s5, v0
	v_lshl_or_b32 v0, s17, 7, v0
	v_ashrrev_i32_e32 v2, 31, v1
	s_delay_alu instid0(VALU_DEP_1) | instskip(NEXT) | instid1(VALU_DEP_1)
	v_lshlrev_b64 v[1:2], 2, v[1:2]
	v_add_co_u32 v1, vcc_lo, s0, v1
	s_delay_alu instid0(VALU_DEP_2) | instskip(SKIP_1) | instid1(SALU_CYCLE_1)
	v_add_co_ci_u32_e32 v2, vcc_lo, s1, v2, vcc_lo
	s_lshl_b32 s0, s13, 6
	s_add_i32 s0, s0, s17
	global_load_b32 v3, v[1:2], off
	s_ashr_i32 s1, s0, 31
	s_delay_alu instid0(SALU_CYCLE_1) | instskip(NEXT) | instid1(SALU_CYCLE_1)
	s_lshl_b64 s[0:1], s[0:1], 3
	s_add_u32 s0, s2, s0
	s_addc_u32 s1, s3, s1
	s_add_i32 s14, s13, -1
	s_load_b64 s[0:1], s[0:1], 0x0
	v_fmac_f32_e32 v5, 0x4f800000, v4
	s_sub_i32 s6, 0, s20
	s_waitcnt lgkmcnt(0)
	v_mov_b32_e32 v8, s0
	s_delay_alu instid0(VALU_DEP_2) | instskip(SKIP_2) | instid1(VALU_DEP_2)
	v_rcp_f32_e32 v4, v5
	v_cvt_f32_u32_e32 v5, s20
	v_mov_b32_e32 v7, s1
	v_rcp_iflag_f32_e32 v5, v5
	s_waitcnt_depctr 0xfff
	v_mul_f32_e32 v4, 0x5f7ffffc, v4
	s_delay_alu instid0(VALU_DEP_1) | instskip(SKIP_1) | instid1(VALU_DEP_2)
	v_mul_f32_e32 v6, 0x2f800000, v4
	v_mul_f32_e32 v9, 0x4f7ffffe, v5
	v_trunc_f32_e32 v6, v6
	s_delay_alu instid0(VALU_DEP_1) | instskip(SKIP_1) | instid1(VALU_DEP_4)
	v_fmac_f32_e32 v4, 0xcf800000, v6
	v_cvt_u32_f32_e32 v5, v6
	v_cvt_u32_f32_e32 v6, v9
	s_delay_alu instid0(VALU_DEP_3)
	v_cvt_u32_f32_e32 v4, v4
.LBB27_9:                               ; =>This Inner Loop Header: Depth=1
	s_mul_hi_i32 s13, s14, s7
	s_mul_i32 s4, s14, s7
	s_cmp_lg_u64 s[12:13], 0
	s_mov_b32 s5, -1
                                        ; implicit-def: $sgpr0_sgpr1
	s_cbranch_scc0 .LBB27_11
; %bb.10:                               ;   in Loop: Header=BB27_9 Depth=1
	v_readfirstlane_b32 s0, v4
	v_readfirstlane_b32 s1, v5
	s_sub_u32 s5, 0, s20
	s_subb_u32 s15, 0, 0
	s_delay_alu instid0(VALU_DEP_2) | instskip(NEXT) | instid1(VALU_DEP_1)
	s_mul_hi_u32 s21, s5, s0
	s_mul_i32 s22, s5, s1
	s_mul_i32 s23, s15, s0
	s_add_i32 s21, s21, s22
	s_mul_i32 s22, s5, s0
	s_add_i32 s21, s21, s23
	s_mul_hi_u32 s23, s0, s22
	s_mul_i32 s24, s0, s21
	s_mul_hi_u32 s0, s0, s21
	s_add_u32 s23, s23, s24
	s_mul_i32 s25, s1, s22
	s_addc_u32 s0, 0, s0
	s_mul_hi_u32 s22, s1, s22
	s_mul_hi_u32 s24, s1, s21
	s_add_u32 s23, s23, s25
	s_addc_u32 s0, s0, s22
	s_mul_i32 s21, s1, s21
	s_addc_u32 s22, s24, 0
	s_add_u32 s0, s0, s21
	s_addc_u32 s21, 0, s22
	v_add_co_u32 v9, s0, v4, s0
	s_delay_alu instid0(VALU_DEP_1) | instskip(SKIP_1) | instid1(VALU_DEP_1)
	s_cmp_lg_u32 s0, 0
	s_addc_u32 s1, s1, s21
	v_readfirstlane_b32 s0, v9
	s_mul_i32 s21, s5, s1
	s_delay_alu instid0(VALU_DEP_1)
	s_mul_hi_u32 s22, s5, s0
	s_mul_i32 s15, s15, s0
	s_add_i32 s21, s22, s21
	s_mul_i32 s5, s5, s0
	s_add_i32 s21, s21, s15
	s_mul_hi_u32 s15, s1, s5
	s_mul_i32 s23, s1, s5
	s_mul_i32 s24, s0, s21
	s_mul_hi_u32 s5, s0, s5
	s_mul_hi_u32 s0, s0, s21
	s_add_u32 s5, s5, s24
	s_addc_u32 s0, 0, s0
	s_mul_hi_u32 s22, s1, s21
	s_add_u32 s5, s5, s23
	s_addc_u32 s0, s0, s15
	s_mul_i32 s5, s1, s21
	s_addc_u32 s15, s22, 0
	s_add_u32 s0, s0, s5
	s_addc_u32 s5, 0, s15
	v_add_co_u32 v9, s0, v9, s0
	s_delay_alu instid0(VALU_DEP_1) | instskip(SKIP_2) | instid1(SALU_CYCLE_1)
	s_cmp_lg_u32 s0, 0
	s_addc_u32 s5, s1, s5
	s_ashr_i32 s0, s13, 31
	s_add_u32 s22, s4, s0
	s_addc_u32 s23, s13, s0
	v_readfirstlane_b32 s13, v9
	s_mov_b32 s1, s0
	s_delay_alu instid0(SALU_CYCLE_1) | instskip(NEXT) | instid1(SALU_CYCLE_1)
	s_xor_b64 s[22:23], s[22:23], s[0:1]
	s_mul_i32 s15, s22, s5
	s_delay_alu instid0(VALU_DEP_1)
	s_mul_hi_u32 s21, s22, s13
	s_mul_hi_u32 s24, s22, s5
	s_add_u32 s15, s21, s15
	s_mul_i32 s25, s23, s13
	s_addc_u32 s21, 0, s24
	s_mul_hi_u32 s13, s23, s13
	s_mul_hi_u32 s24, s23, s5
	s_add_u32 s15, s15, s25
	s_addc_u32 s13, s21, s13
	s_mul_i32 s5, s23, s5
	s_addc_u32 s15, s24, 0
	s_add_u32 s5, s13, s5
	s_addc_u32 s13, 0, s15
	s_mul_i32 s21, s20, s5
	s_add_u32 s15, s5, 1
	v_sub_co_u32 v9, s21, s22, s21
	s_addc_u32 s22, s13, 0
	s_mul_i32 s25, s20, s13
	s_mul_hi_u32 s27, s20, s5
	s_delay_alu instid0(VALU_DEP_1)
	v_sub_co_u32 v10, s26, v9, s20
	s_add_u32 s24, s5, 2
	s_addc_u32 s28, s13, 0
	s_add_i32 s27, s27, s25
	s_cmp_lg_u32 s21, 0
	v_readfirstlane_b32 s21, v10
	s_subb_u32 s23, s23, s27
	s_cmp_lg_u32 s26, 0
	s_subb_u32 s25, s23, 0
	s_delay_alu instid0(VALU_DEP_1) | instskip(SKIP_4) | instid1(SALU_CYCLE_1)
	s_cmp_ge_u32 s21, s20
	s_cselect_b32 s21, -1, 0
	s_cmp_eq_u32 s25, 0
	v_readfirstlane_b32 s25, v9
	s_cselect_b32 s21, s21, -1
	s_cmp_lg_u32 s21, 0
	s_cselect_b32 s15, s24, s15
	s_cselect_b32 s21, s28, s22
	s_cmp_ge_u32 s25, s20
	s_cselect_b32 s22, -1, 0
	s_cmp_eq_u32 s23, 0
	s_cselect_b32 s22, s22, -1
	s_delay_alu instid0(SALU_CYCLE_1) | instskip(SKIP_4) | instid1(SALU_CYCLE_1)
	s_cmp_lg_u32 s22, 0
	s_cselect_b32 s23, s21, s13
	s_cselect_b32 s22, s15, s5
	s_mov_b32 s5, 0
	s_xor_b64 s[22:23], s[22:23], s[0:1]
	s_sub_u32 s0, s22, s0
.LBB27_11:                              ;   in Loop: Header=BB27_9 Depth=1
	s_and_not1_b32 vcc_lo, exec_lo, s5
	s_cbranch_vccnz .LBB27_13
; %bb.12:                               ;   in Loop: Header=BB27_9 Depth=1
	v_readfirstlane_b32 s0, v6
	s_delay_alu instid0(VALU_DEP_1) | instskip(NEXT) | instid1(SALU_CYCLE_1)
	s_mul_i32 s1, s6, s0
	s_mul_hi_u32 s1, s0, s1
	s_delay_alu instid0(SALU_CYCLE_1) | instskip(NEXT) | instid1(SALU_CYCLE_1)
	s_add_i32 s0, s0, s1
	s_mul_hi_u32 s0, s4, s0
	s_delay_alu instid0(SALU_CYCLE_1) | instskip(NEXT) | instid1(SALU_CYCLE_1)
	s_mul_i32 s1, s0, s20
	s_sub_i32 s1, s4, s1
	s_add_i32 s4, s0, 1
	s_sub_i32 s5, s1, s20
	s_cmp_ge_u32 s1, s20
	s_cselect_b32 s0, s4, s0
	s_cselect_b32 s1, s5, s1
	s_add_i32 s4, s0, 1
	s_cmp_ge_u32 s1, s20
	s_cselect_b32 s0, s4, s0
.LBB27_13:                              ;   in Loop: Header=BB27_9 Depth=1
	s_delay_alu instid0(SALU_CYCLE_1)
	s_cmp_lg_u32 s16, s0
	s_cbranch_scc0 .LBB27_17
; %bb.14:                               ;   in Loop: Header=BB27_9 Depth=1
	s_add_i32 s1, s14, s20
	s_mov_b32 s5, s12
	s_lshl_b32 s1, s1, 6
	s_mov_b32 s15, s16
	s_add_i32 s4, s1, s17
	s_mul_hi_u32 s1, s0, s8
	s_lshl_b64 s[4:5], s[4:5], 3
	s_delay_alu instid0(SALU_CYCLE_1) | instskip(SKIP_2) | instid1(SALU_CYCLE_1)
	s_add_u32 s4, s2, s4
	s_addc_u32 s5, s3, s5
	s_add_i32 s1, s1, s0
	s_lshr_b32 s1, s1, s9
	s_delay_alu instid0(SALU_CYCLE_1) | instskip(NEXT) | instid1(SALU_CYCLE_1)
	s_mul_i32 s13, s1, s10
	s_cmp_eq_u32 s13, s0
	s_cselect_b32 s13, -1, 0
	s_cmp_lt_u32 s1, s11
	s_cselect_b32 s1, -1, 0
	s_delay_alu instid0(SALU_CYCLE_1)
	s_or_b32 s1, s1, s13
	s_mov_b32 s13, -1
	s_and_b32 vcc_lo, exec_lo, s1
	s_mov_b32 s1, s14
	s_cbranch_vccnz .LBB27_16
; %bb.15:                               ;   in Loop: Header=BB27_9 Depth=1
	s_add_i32 s1, s14, -1
	s_mov_b32 s13, 0
	s_mov_b32 s15, s0
.LBB27_16:                              ;   in Loop: Header=BB27_9 Depth=1
	v_lshl_add_u32 v9, s14, 13, v0
	s_load_b64 s[4:5], s[4:5], 0x0
	s_delay_alu instid0(VALU_DEP_1) | instskip(NEXT) | instid1(VALU_DEP_1)
	v_ashrrev_i32_e32 v10, 31, v9
	v_lshlrev_b64 v[9:10], 2, v[9:10]
	s_delay_alu instid0(VALU_DEP_1) | instskip(NEXT) | instid1(VALU_DEP_2)
	v_add_co_u32 v9, vcc_lo, s18, v9
	v_add_co_ci_u32_e32 v10, vcc_lo, s19, v10, vcc_lo
	s_waitcnt lgkmcnt(0)
	v_max_f32_e64 v11, s4, s4
	global_load_b32 v10, v[9:10], off
	v_max_f32_e32 v9, v8, v8
	s_delay_alu instid0(VALU_DEP_1) | instskip(NEXT) | instid1(VALU_DEP_1)
	v_max_f32_e32 v9, v9, v11
	v_sub_f32_e32 v12, v8, v9
	s_delay_alu instid0(VALU_DEP_1) | instskip(NEXT) | instid1(VALU_DEP_1)
	v_dual_mul_f32 v14, 0x3fb8aa3b, v12 :: v_dual_sub_f32 v11, s4, v9
	v_rndne_f32_e32 v18, v14
	s_delay_alu instid0(VALU_DEP_2) | instskip(SKIP_2) | instid1(VALU_DEP_4)
	v_mul_f32_e32 v13, 0x3fb8aa3b, v11
	v_fma_f32 v17, 0x3fb8aa3b, v12, -v14
	v_cmp_ngt_f32_e32 vcc_lo, 0xc2ce8ed0, v11
	v_sub_f32_e32 v14, v14, v18
	s_delay_alu instid0(VALU_DEP_4) | instskip(SKIP_2) | instid1(VALU_DEP_3)
	v_fma_f32 v15, 0x3fb8aa3b, v11, -v13
	v_rndne_f32_e32 v16, v13
	v_fmac_f32_e32 v17, 0x32a5705f, v12
	v_fmac_f32_e32 v15, 0x32a5705f, v11
	s_delay_alu instid0(VALU_DEP_2) | instskip(NEXT) | instid1(VALU_DEP_1)
	v_dual_sub_f32 v13, v13, v16 :: v_dual_add_f32 v14, v14, v17
	v_add_f32_e32 v13, v13, v15
	s_delay_alu instid0(VALU_DEP_2) | instskip(SKIP_2) | instid1(VALU_DEP_3)
	v_exp_f32_e32 v14, v14
	v_cvt_i32_f32_e32 v15, v16
	v_cvt_i32_f32_e32 v16, v18
	v_exp_f32_e32 v13, v13
	s_waitcnt_depctr 0xfff
	v_ldexp_f32 v14, v14, v16
	v_ldexp_f32 v13, v13, v15
	s_delay_alu instid0(VALU_DEP_1) | instskip(SKIP_1) | instid1(VALU_DEP_4)
	v_cndmask_b32_e32 v13, 0, v13, vcc_lo
	v_cmp_ngt_f32_e32 vcc_lo, 0xc2ce8ed0, v12
	v_cndmask_b32_e32 v14, 0, v14, vcc_lo
	v_cmp_nlt_f32_e32 vcc_lo, 0x42b17218, v11
	s_delay_alu instid0(VALU_DEP_4) | instskip(SKIP_1) | instid1(VALU_DEP_4)
	v_cndmask_b32_e32 v13, 0x7f800000, v13, vcc_lo
	v_cmp_nlt_f32_e32 vcc_lo, 0x42b17218, v12
	v_cndmask_b32_e32 v14, 0x7f800000, v14, vcc_lo
	v_cmp_le_f32_e32 vcc_lo, 0xc1a00000, v11
	s_delay_alu instid0(VALU_DEP_4) | instskip(SKIP_1) | instid1(VALU_DEP_4)
	v_cndmask_b32_e32 v11, 0, v13, vcc_lo
	v_cmp_le_f32_e32 vcc_lo, 0xc1a00000, v12
	v_cndmask_b32_e32 v12, 0, v14, vcc_lo
	s_waitcnt vmcnt(0)
	s_delay_alu instid0(VALU_DEP_3) | instskip(NEXT) | instid1(VALU_DEP_1)
	v_mul_f32_e32 v10, v10, v11
	v_dual_mul_f32 v11, s5, v11 :: v_dual_fmac_f32 v10, v3, v12
	s_delay_alu instid0(VALU_DEP_1)
	v_fmac_f32_e32 v11, v7, v12
	s_cbranch_execz .LBB27_18
	s_branch .LBB27_19
.LBB27_17:                              ;   in Loop: Header=BB27_9 Depth=1
                                        ; implicit-def: $sgpr13
                                        ; implicit-def: $vgpr10
                                        ; implicit-def: $vgpr9
                                        ; implicit-def: $vgpr11
                                        ; implicit-def: $sgpr1
                                        ; implicit-def: $sgpr15
.LBB27_18:                              ;   in Loop: Header=BB27_9 Depth=1
	v_mov_b32_e32 v11, v7
	s_waitcnt vmcnt(0)
	v_dual_mov_b32 v9, v8 :: v_dual_mov_b32 v10, v3
	s_add_i32 s1, s14, -1
	s_mov_b32 s13, 0
	s_mov_b32 s15, s16
.LBB27_19:                              ;   in Loop: Header=BB27_9 Depth=1
	s_and_not1_b32 vcc_lo, exec_lo, s13
	s_cbranch_vccz .LBB27_23
; %bb.20:                               ;   in Loop: Header=BB27_9 Depth=1
	v_dual_mov_b32 v7, v11 :: v_dual_mov_b32 v8, v9
	s_waitcnt vmcnt(0)
	v_mov_b32_e32 v3, v10
	s_mov_b32 s16, s15
	s_mov_b32 s14, s1
	s_branch .LBB27_9
.LBB27_21:
                                        ; implicit-def: $sgpr16_sgpr17
	s_load_b128 s[8:11], s[0:1], 0x44
	s_branch .LBB27_2
.LBB27_22:
                                        ; implicit-def: $sgpr18_sgpr19
	s_branch .LBB27_5
.LBB27_23:
	v_div_scale_f32 v0, null, v11, v11, v10
	s_waitcnt vmcnt(0)
	s_delay_alu instid0(VALU_DEP_1) | instskip(SKIP_2) | instid1(VALU_DEP_1)
	v_rcp_f32_e32 v3, v0
	s_waitcnt_depctr 0xfff
	v_fma_f32 v4, -v0, v3, 1.0
	v_fmac_f32_e32 v3, v4, v3
	v_div_scale_f32 v4, vcc_lo, v10, v11, v10
	s_delay_alu instid0(VALU_DEP_1) | instskip(NEXT) | instid1(VALU_DEP_1)
	v_mul_f32_e32 v5, v4, v3
	v_fma_f32 v6, -v0, v5, v4
	s_delay_alu instid0(VALU_DEP_1) | instskip(NEXT) | instid1(VALU_DEP_1)
	v_fmac_f32_e32 v5, v6, v3
	v_fma_f32 v0, -v0, v5, v4
	s_delay_alu instid0(VALU_DEP_1) | instskip(NEXT) | instid1(VALU_DEP_1)
	v_div_fmas_f32 v0, v0, v3, v5
	v_div_fixup_f32 v0, v0, v11, v10
	global_store_b32 v[1:2], v0, off
.LBB27_24:
	s_nop 0
	s_sendmsg sendmsg(MSG_DEALLOC_VGPRS)
	s_endpgm
	.section	.rodata,"a",@progbits
	.p2align	6, 0x0
	.amdhsa_kernel _ZL33flash_attn_stream_k_fixup_generalILi128ELi64ELi1EEvPfPK15HIP_vector_typeIfLj2EEiiiiS1_IjLj3EES5_S5_S5_
		.amdhsa_group_segment_fixed_size 0
		.amdhsa_private_segment_fixed_size 0
		.amdhsa_kernarg_size 336
		.amdhsa_user_sgpr_count 13
		.amdhsa_user_sgpr_dispatch_ptr 0
		.amdhsa_user_sgpr_queue_ptr 0
		.amdhsa_user_sgpr_kernarg_segment_ptr 1
		.amdhsa_user_sgpr_dispatch_id 0
		.amdhsa_user_sgpr_private_segment_size 0
		.amdhsa_wavefront_size32 1
		.amdhsa_uses_dynamic_stack 0
		.amdhsa_enable_private_segment 0
		.amdhsa_system_sgpr_workgroup_id_x 1
		.amdhsa_system_sgpr_workgroup_id_y 1
		.amdhsa_system_sgpr_workgroup_id_z 1
		.amdhsa_system_sgpr_workgroup_info 0
		.amdhsa_system_vgpr_workitem_id 0
		.amdhsa_next_free_vgpr 19
		.amdhsa_next_free_sgpr 32
		.amdhsa_reserve_vcc 1
		.amdhsa_float_round_mode_32 0
		.amdhsa_float_round_mode_16_64 0
		.amdhsa_float_denorm_mode_32 3
		.amdhsa_float_denorm_mode_16_64 3
		.amdhsa_dx10_clamp 1
		.amdhsa_ieee_mode 1
		.amdhsa_fp16_overflow 0
		.amdhsa_workgroup_processor_mode 1
		.amdhsa_memory_ordered 1
		.amdhsa_forward_progress 0
		.amdhsa_shared_vgpr_count 0
		.amdhsa_exception_fp_ieee_invalid_op 0
		.amdhsa_exception_fp_denorm_src 0
		.amdhsa_exception_fp_ieee_div_zero 0
		.amdhsa_exception_fp_ieee_overflow 0
		.amdhsa_exception_fp_ieee_underflow 0
		.amdhsa_exception_fp_ieee_inexact 0
		.amdhsa_exception_int_div_zero 0
	.end_amdhsa_kernel
	.section	.text._ZL33flash_attn_stream_k_fixup_generalILi128ELi64ELi1EEvPfPK15HIP_vector_typeIfLj2EEiiiiS1_IjLj3EES5_S5_S5_,"axG",@progbits,_ZL33flash_attn_stream_k_fixup_generalILi128ELi64ELi1EEvPfPK15HIP_vector_typeIfLj2EEiiiiS1_IjLj3EES5_S5_S5_,comdat
.Lfunc_end27:
	.size	_ZL33flash_attn_stream_k_fixup_generalILi128ELi64ELi1EEvPfPK15HIP_vector_typeIfLj2EEiiiiS1_IjLj3EES5_S5_S5_, .Lfunc_end27-_ZL33flash_attn_stream_k_fixup_generalILi128ELi64ELi1EEvPfPK15HIP_vector_typeIfLj2EEiiiiS1_IjLj3EES5_S5_S5_
                                        ; -- End function
	.section	.AMDGPU.csdata,"",@progbits
; Kernel info:
; codeLenInByte = 3220
; NumSgprs: 34
; NumVgprs: 19
; ScratchSize: 0
; MemoryBound: 0
; FloatMode: 240
; IeeeMode: 1
; LDSByteSize: 0 bytes/workgroup (compile time only)
; SGPRBlocks: 4
; VGPRBlocks: 2
; NumSGPRsForWavesPerEU: 34
; NumVGPRsForWavesPerEU: 19
; Occupancy: 16
; WaveLimiterHint : 0
; COMPUTE_PGM_RSRC2:SCRATCH_EN: 0
; COMPUTE_PGM_RSRC2:USER_SGPR: 13
; COMPUTE_PGM_RSRC2:TRAP_HANDLER: 0
; COMPUTE_PGM_RSRC2:TGID_X_EN: 1
; COMPUTE_PGM_RSRC2:TGID_Y_EN: 1
; COMPUTE_PGM_RSRC2:TGID_Z_EN: 1
; COMPUTE_PGM_RSRC2:TIDIG_COMP_CNT: 0
	.section	.text._ZL26flash_attn_combine_resultsILi128EEvPKfPK15HIP_vector_typeIfLj2EEPfi,"axG",@progbits,_ZL26flash_attn_combine_resultsILi128EEvPKfPK15HIP_vector_typeIfLj2EEPfi,comdat
	.globl	_ZL26flash_attn_combine_resultsILi128EEvPKfPK15HIP_vector_typeIfLj2EEPfi ; -- Begin function _ZL26flash_attn_combine_resultsILi128EEvPKfPK15HIP_vector_typeIfLj2EEPfi
	.p2align	8
	.type	_ZL26flash_attn_combine_resultsILi128EEvPKfPK15HIP_vector_typeIfLj2EEPfi,@function
_ZL26flash_attn_combine_resultsILi128EEvPKfPK15HIP_vector_typeIfLj2EEPfi: ; @_ZL26flash_attn_combine_resultsILi128EEvPKfPK15HIP_vector_typeIfLj2EEPfi
; %bb.0:
	s_clause 0x3
	s_load_b64 s[2:3], s[0:1], 0x20
	s_load_b32 s11, s[0:1], 0x18
	s_load_b128 s[4:7], s[0:1], 0x0
	s_load_b64 s[8:9], s[0:1], 0x10
	v_lshlrev_b32_e32 v5, 2, v0
	s_mov_b32 s12, exec_lo
	s_waitcnt lgkmcnt(0)
	s_mul_i32 s0, s2, s15
	s_lshl_b32 s1, s11, 1
	s_add_i32 s0, s0, s13
	s_delay_alu instid0(SALU_CYCLE_1) | instskip(NEXT) | instid1(SALU_CYCLE_1)
	s_mul_i32 s10, s0, s3
	s_add_i32 s10, s10, s14
	s_delay_alu instid0(SALU_CYCLE_1)
	s_mul_i32 s2, s10, s11
	v_cmpx_gt_i32_e64 s1, v0
	s_cbranch_execz .LBB28_3
; %bb.1:
	s_ashr_i32 s3, s2, 31
	v_dual_mov_b32 v4, v0 :: v_dual_add_nc_u32 v3, 0, v5
	s_lshl_b64 s[14:15], s[2:3], 3
	s_delay_alu instid0(SALU_CYCLE_1) | instskip(SKIP_2) | instid1(VALU_DEP_1)
	s_add_u32 s0, s6, s14
	s_addc_u32 s3, s7, s15
	v_add_co_u32 v1, s0, s0, v5
	v_add_co_ci_u32_e64 v2, null, s3, 0, s0
	s_mov_b32 s3, 0
	.p2align	6
.LBB28_2:                               ; =>This Inner Loop Header: Depth=1
	global_load_b32 v6, v[1:2], off
	v_add_nc_u32_e32 v4, 0x80, v4
	v_add_co_u32 v1, vcc_lo, 0x200, v1
	v_add_co_ci_u32_e32 v2, vcc_lo, 0, v2, vcc_lo
	s_delay_alu instid0(VALU_DEP_3) | instskip(NEXT) | instid1(VALU_DEP_1)
	v_cmp_le_i32_e64 s0, s1, v4
	s_or_b32 s3, s0, s3
	s_waitcnt vmcnt(0)
	ds_store_b32 v3, v6
	v_add_nc_u32_e32 v3, 0x200, v3
	s_and_not1_b32 exec_lo, exec_lo, s3
	s_cbranch_execnz .LBB28_2
.LBB28_3:
	s_or_b32 exec_lo, exec_lo, s12
	v_mov_b32_e32 v1, 0
	s_waitcnt lgkmcnt(0)
	s_barrier
	buffer_gl0_inv
	s_cmp_lt_i32 s11, 2
	ds_load_b32 v6, v1
	s_cbranch_scc1 .LBB28_11
; %bb.4:
	s_add_i32 s1, s11, -2
	s_add_i32 s0, s11, -1
	s_cmp_lt_u32 s1, 7
	s_cbranch_scc1 .LBB28_8
; %bb.5:
	s_mov_b32 s3, 0
	s_add_i32 s1, 0, 8
	s_and_b32 s6, s0, -8
	.p2align	6
.LBB28_6:                               ; =>This Inner Loop Header: Depth=1
	v_mov_b32_e32 v9, s1
	s_mov_b32 s7, s3
	s_add_i32 s3, s3, 8
	s_add_i32 s1, s1, 64
	s_cmp_eq_u32 s6, s3
	ds_load_2addr_b32 v[1:2], v9 offset1:2
	ds_load_2addr_b32 v[3:4], v9 offset0:4 offset1:6
	ds_load_2addr_b32 v[7:8], v9 offset0:8 offset1:10
	;; [unrolled: 1-line block ×3, first 2 shown]
	s_waitcnt lgkmcnt(3)
	v_max3_f32 v1, v6, v1, v2
	s_waitcnt lgkmcnt(2)
	s_delay_alu instid0(VALU_DEP_1) | instskip(SKIP_1) | instid1(VALU_DEP_1)
	v_max3_f32 v1, v1, v3, v4
	s_waitcnt lgkmcnt(1)
	v_max3_f32 v1, v1, v7, v8
	s_waitcnt lgkmcnt(0)
	s_delay_alu instid0(VALU_DEP_1)
	v_max3_f32 v6, v1, v9, v10
	s_cbranch_scc0 .LBB28_6
; %bb.7:
	s_add_i32 s1, s7, 9
	s_and_b32 s0, s0, 7
	s_delay_alu instid0(SALU_CYCLE_1)
	s_cmp_eq_u32 s0, 0
	s_cbranch_scc0 .LBB28_9
	s_branch .LBB28_11
.LBB28_8:
	s_mov_b32 s1, 1
	s_and_b32 s0, s0, 7
	s_delay_alu instid0(SALU_CYCLE_1)
	s_cmp_eq_u32 s0, 0
	s_cbranch_scc1 .LBB28_11
.LBB28_9:
	s_lshl_b32 s1, s1, 3
	s_delay_alu instid0(SALU_CYCLE_1)
	s_add_i32 s1, s1, 0
.LBB28_10:                              ; =>This Inner Loop Header: Depth=1
	s_waitcnt lgkmcnt(0)
	s_delay_alu instid0(VALU_DEP_1)
	v_dual_mov_b32 v1, s1 :: v_dual_max_f32 v2, v6, v6
	s_add_i32 s0, s0, -1
	s_add_i32 s1, s1, 8
	s_cmp_lg_u32 s0, 0
	ds_load_b32 v1, v1
	s_waitcnt lgkmcnt(0)
	v_max_f32_e32 v1, v1, v1
	s_delay_alu instid0(VALU_DEP_1)
	v_max_f32_e32 v6, v2, v1
	s_cbranch_scc1 .LBB28_10
.LBB28_11:
	s_cmp_lt_i32 s11, 1
	s_cbranch_scc1 .LBB28_16
; %bb.12:
	s_lshl_b32 s0, s2, 7
	v_mov_b32_e32 v7, 0
	s_ashr_i32 s1, s0, 31
	s_mov_b32 s13, 0
	s_lshl_b64 s[0:1], s[0:1], 2
	s_delay_alu instid0(SALU_CYCLE_1)
	s_add_u32 s6, s4, s0
	s_addc_u32 s7, s5, s1
	s_cmp_lt_u32 s11, 8
	s_cbranch_scc1 .LBB28_17
; %bb.13:
	v_or_b32_e32 v1, 0x380, v0
	v_dual_mov_b32 v4, 0 :: v_dual_mov_b32 v7, 0
	v_mov_b32_e32 v8, 0
	s_and_b32 s12, s11, 0x7ffffff8
	s_mov_b32 s14, 0
.LBB28_14:                              ; =>This Inner Loop Header: Depth=1
	s_delay_alu instid0(VALU_DEP_2) | instskip(SKIP_3) | instid1(VALU_DEP_2)
	v_dual_mov_b32 v2, v4 :: v_dual_add_nc_u32 v3, 0xfffffc80, v1
	v_mov_b32_e32 v21, s13
	s_add_i32 s14, s14, 8
	s_add_i32 s13, s13, 64
	v_lshlrev_b64 v[9:10], 2, v[3:4]
	v_add_nc_u32_e32 v3, 0xfffffd00, v1
	v_lshlrev_b64 v[11:12], 2, v[1:2]
	s_cmp_eq_u32 s12, s14
	s_delay_alu instid0(VALU_DEP_2) | instskip(NEXT) | instid1(VALU_DEP_4)
	v_lshlrev_b64 v[13:14], 2, v[3:4]
	v_add_co_u32 v9, vcc_lo, s6, v9
	v_add_co_ci_u32_e32 v10, vcc_lo, s7, v10, vcc_lo
	v_add_nc_u32_e32 v3, 0xfffffd80, v1
	s_delay_alu instid0(VALU_DEP_4)
	v_add_co_u32 v13, vcc_lo, s6, v13
	global_load_b32 v25, v[9:10], off
	v_add_co_ci_u32_e32 v14, vcc_lo, s7, v14, vcc_lo
	v_lshlrev_b64 v[15:16], 2, v[3:4]
	v_add_nc_u32_e32 v3, 0xfffffe00, v1
	global_load_b32 v26, v[13:14], off
	v_add_co_u32 v13, vcc_lo, s6, v15
	v_add_co_ci_u32_e32 v14, vcc_lo, s7, v16, vcc_lo
	v_lshlrev_b64 v[9:10], 2, v[3:4]
	v_add_nc_u32_e32 v3, 0xfffffe80, v1
	global_load_b32 v27, v[13:14], off
	v_add_co_u32 v9, vcc_lo, s6, v9
	v_lshlrev_b64 v[15:16], 2, v[3:4]
	v_add_nc_u32_e32 v3, 0xffffff00, v1
	v_add_co_ci_u32_e32 v10, vcc_lo, s7, v10, vcc_lo
	global_load_b32 v28, v[9:10], off
	v_lshlrev_b64 v[13:14], 2, v[3:4]
	v_add_nc_u32_e32 v3, 0xffffff80, v1
	v_add_co_u32 v9, vcc_lo, s6, v15
	v_add_co_ci_u32_e32 v10, vcc_lo, s7, v16, vcc_lo
	s_delay_alu instid0(VALU_DEP_4) | instskip(NEXT) | instid1(VALU_DEP_4)
	v_add_co_u32 v13, vcc_lo, s6, v13
	v_lshlrev_b64 v[2:3], 2, v[3:4]
	v_add_co_ci_u32_e32 v14, vcc_lo, s7, v14, vcc_lo
	s_clause 0x1
	global_load_b32 v29, v[9:10], off
	global_load_b32 v30, v[13:14], off
	v_add_co_u32 v2, vcc_lo, s6, v2
	v_add_co_ci_u32_e32 v3, vcc_lo, s7, v3, vcc_lo
	v_add_co_u32 v9, vcc_lo, s6, v11
	v_add_co_ci_u32_e32 v10, vcc_lo, s7, v12, vcc_lo
	s_clause 0x1
	global_load_b32 v2, v[2:3], off
	global_load_b32 v3, v[9:10], off
	ds_load_2addr_b64 v[9:12], v21 offset1:1
	ds_load_2addr_b64 v[13:16], v21 offset0:2 offset1:3
	ds_load_2addr_b64 v[17:20], v21 offset0:4 offset1:5
	ds_load_2addr_b64 v[21:24], v21 offset0:6 offset1:7
	v_add_nc_u32_e32 v1, 0x400, v1
	s_waitcnt lgkmcnt(1)
	v_sub_f32_e32 v19, v19, v6
	v_sub_f32_e32 v11, v11, v6
	s_waitcnt lgkmcnt(0)
	v_sub_f32_e32 v23, v23, v6
	s_delay_alu instid0(VALU_DEP_3) | instskip(NEXT) | instid1(VALU_DEP_3)
	v_dual_sub_f32 v13, v13, v6 :: v_dual_mul_f32 v36, 0x3fb8aa3b, v19
	v_mul_f32_e32 v32, 0x3fb8aa3b, v11
	s_delay_alu instid0(VALU_DEP_2) | instskip(SKIP_1) | instid1(VALU_DEP_4)
	v_dual_mul_f32 v38, 0x3fb8aa3b, v23 :: v_dual_mul_f32 v33, 0x3fb8aa3b, v13
	v_cmp_ngt_f32_e32 vcc_lo, 0xc2ce8ed0, v13
	v_fma_f32 v49, 0x3fb8aa3b, v19, -v36
	s_delay_alu instid0(VALU_DEP_4) | instskip(SKIP_4) | instid1(VALU_DEP_4)
	v_fma_f32 v41, 0x3fb8aa3b, v11, -v32
	v_rndne_f32_e32 v42, v32
	v_fma_f32 v43, 0x3fb8aa3b, v13, -v33
	v_rndne_f32_e32 v44, v33
	v_rndne_f32_e32 v50, v36
	v_dual_fmac_f32 v41, 0x32a5705f, v11 :: v_dual_sub_f32 v32, v32, v42
	v_sub_f32_e32 v15, v15, v6
	v_fmac_f32_e32 v43, 0x32a5705f, v13
	v_sub_f32_e32 v33, v33, v44
	v_cvt_i32_f32_e32 v42, v42
	v_dual_add_f32 v32, v32, v41 :: v_dual_sub_f32 v9, v9, v6
	v_mul_f32_e32 v34, 0x3fb8aa3b, v15
	s_delay_alu instid0(VALU_DEP_4) | instskip(SKIP_1) | instid1(VALU_DEP_4)
	v_add_f32_e32 v33, v33, v43
	v_cvt_i32_f32_e32 v44, v44
	v_exp_f32_e32 v32, v32
	v_mul_f32_e32 v31, 0x3fb8aa3b, v9
	v_fma_f32 v45, 0x3fb8aa3b, v15, -v34
	v_rndne_f32_e32 v46, v34
	v_exp_f32_e32 v33, v33
	v_cmp_ngt_f32_e64 s5, 0xc2ce8ed0, v9
	v_fma_f32 v39, 0x3fb8aa3b, v9, -v31
	v_rndne_f32_e32 v40, v31
	v_dual_fmac_f32 v45, 0x32a5705f, v15 :: v_dual_sub_f32 v34, v34, v46
	v_sub_f32_e32 v17, v17, v6
	s_delay_alu instid0(VALU_DEP_4) | instskip(NEXT) | instid1(VALU_DEP_4)
	v_fmac_f32_e32 v39, 0x32a5705f, v9
	v_sub_f32_e32 v31, v31, v40
	v_cvt_i32_f32_e32 v40, v40
	v_add_f32_e32 v34, v34, v45
	v_ldexp_f32 v32, v32, v42
	v_ldexp_f32 v33, v33, v44
	v_add_f32_e32 v31, v31, v39
	v_cvt_i32_f32_e32 v46, v46
	v_exp_f32_e32 v34, v34
	v_cmp_ngt_f32_e64 s0, 0xc2ce8ed0, v15
	v_fmac_f32_e32 v49, 0x32a5705f, v19
	v_exp_f32_e32 v31, v31
	v_sub_f32_e32 v36, v36, v50
	v_cvt_i32_f32_e32 v50, v50
	v_cmp_ngt_f32_e64 s1, 0xc2ce8ed0, v17
	v_rndne_f32_e32 v54, v38
	s_delay_alu instid0(VALU_DEP_4) | instskip(NEXT) | instid1(TRANS32_DEP_2)
	v_add_f32_e32 v36, v36, v49
	v_ldexp_f32 v34, v34, v46
	v_cmp_ngt_f32_e64 s2, 0xc2ce8ed0, v19
	s_delay_alu instid0(TRANS32_DEP_1) | instskip(NEXT) | instid1(VALU_DEP_4)
	v_ldexp_f32 v31, v31, v40
	v_exp_f32_e32 v36, v36
	s_delay_alu instid0(VALU_DEP_1) | instskip(SKIP_1) | instid1(VALU_DEP_1)
	v_cndmask_b32_e64 v31, 0, v31, s5
	v_cmp_ngt_f32_e64 s5, 0xc2ce8ed0, v11
	v_cndmask_b32_e64 v32, 0, v32, s5
	v_cmp_nlt_f32_e64 s5, 0x42b17218, v9
	s_waitcnt_depctr 0xfff
	v_ldexp_f32 v36, v36, v50
	v_cndmask_b32_e64 v9, 0x7f800000, v31, s5
	v_cndmask_b32_e32 v31, 0, v33, vcc_lo
	v_cmp_nlt_f32_e32 vcc_lo, 0x42b17218, v11
	s_delay_alu instid0(VALU_DEP_3) | instskip(SKIP_1) | instid1(VALU_DEP_2)
	v_dual_fmac_f32 v8, v9, v10 :: v_dual_cndmask_b32 v11, 0x7f800000, v32
	v_cmp_nlt_f32_e32 vcc_lo, 0x42b17218, v13
	v_fmac_f32_e32 v8, v11, v12
	v_cndmask_b32_e32 v10, 0x7f800000, v31, vcc_lo
	v_cmp_nlt_f32_e32 vcc_lo, 0x42b17218, v15
	v_fma_f32 v53, 0x3fb8aa3b, v23, -v38
	v_sub_f32_e32 v38, v38, v54
	v_cvt_i32_f32_e32 v54, v54
	v_fmac_f32_e32 v8, v10, v14
	v_cmp_ngt_f32_e64 s4, 0xc2ce8ed0, v23
	v_fmac_f32_e32 v53, 0x32a5705f, v23
	s_delay_alu instid0(VALU_DEP_1) | instskip(NEXT) | instid1(VALU_DEP_1)
	v_dual_sub_f32 v21, v21, v6 :: v_dual_add_f32 v38, v38, v53
	v_cmp_ngt_f32_e64 s3, 0xc2ce8ed0, v21
	s_delay_alu instid0(VALU_DEP_2)
	v_exp_f32_e32 v38, v38
	s_waitcnt_depctr 0xfff
	v_ldexp_f32 v38, v38, v54
	s_waitcnt vmcnt(7)
	v_fmac_f32_e32 v7, v25, v9
	v_cndmask_b32_e64 v9, 0, v34, s0
	s_delay_alu instid0(VALU_DEP_1) | instskip(SKIP_1) | instid1(VALU_DEP_3)
	v_cndmask_b32_e32 v9, 0x7f800000, v9, vcc_lo
	s_waitcnt vmcnt(6)
	v_fmac_f32_e32 v7, v26, v11
	v_cmp_nlt_f32_e32 vcc_lo, 0x42b17218, v17
	s_delay_alu instid0(VALU_DEP_3) | instskip(SKIP_1) | instid1(VALU_DEP_3)
	v_dual_fmac_f32 v8, v9, v16 :: v_dual_mul_f32 v35, 0x3fb8aa3b, v17
	s_waitcnt vmcnt(5)
	v_fmac_f32_e32 v7, v27, v10
	s_delay_alu instid0(VALU_DEP_2) | instskip(SKIP_2) | instid1(VALU_DEP_3)
	v_fma_f32 v47, 0x3fb8aa3b, v17, -v35
	v_rndne_f32_e32 v48, v35
	v_cndmask_b32_e64 v10, 0, v36, s2
	v_fmac_f32_e32 v47, 0x32a5705f, v17
	s_delay_alu instid0(VALU_DEP_3) | instskip(SKIP_1) | instid1(VALU_DEP_2)
	v_sub_f32_e32 v35, v35, v48
	v_cvt_i32_f32_e32 v48, v48
	v_add_f32_e32 v35, v35, v47
	s_waitcnt vmcnt(4)
	v_fmac_f32_e32 v7, v28, v9
	s_delay_alu instid0(VALU_DEP_2) | instskip(SKIP_2) | instid1(VALU_DEP_1)
	v_exp_f32_e32 v35, v35
	s_waitcnt_depctr 0xfff
	v_ldexp_f32 v35, v35, v48
	v_cndmask_b32_e64 v11, 0, v35, s1
	s_delay_alu instid0(VALU_DEP_1) | instskip(SKIP_1) | instid1(VALU_DEP_2)
	v_cndmask_b32_e32 v11, 0x7f800000, v11, vcc_lo
	v_cmp_nlt_f32_e32 vcc_lo, 0x42b17218, v19
	v_fmac_f32_e32 v8, v11, v18
	v_cndmask_b32_e32 v10, 0x7f800000, v10, vcc_lo
	v_mul_f32_e32 v37, 0x3fb8aa3b, v21
	s_waitcnt vmcnt(3)
	v_fmac_f32_e32 v7, v29, v11
	v_cmp_nlt_f32_e32 vcc_lo, 0x42b17218, v21
	v_cndmask_b32_e64 v11, 0, v38, s4
	v_fmac_f32_e32 v8, v10, v20
	v_fma_f32 v51, 0x3fb8aa3b, v21, -v37
	v_rndne_f32_e32 v52, v37
	s_waitcnt vmcnt(2)
	v_fmac_f32_e32 v7, v30, v10
	s_delay_alu instid0(VALU_DEP_3) | instskip(NEXT) | instid1(VALU_DEP_3)
	v_fmac_f32_e32 v51, 0x32a5705f, v21
	v_sub_f32_e32 v37, v37, v52
	v_cvt_i32_f32_e32 v52, v52
	s_delay_alu instid0(VALU_DEP_2) | instskip(NEXT) | instid1(VALU_DEP_1)
	v_add_f32_e32 v37, v37, v51
	v_exp_f32_e32 v37, v37
	s_waitcnt_depctr 0xfff
	v_ldexp_f32 v37, v37, v52
	s_delay_alu instid0(VALU_DEP_1) | instskip(NEXT) | instid1(VALU_DEP_1)
	v_cndmask_b32_e64 v9, 0, v37, s3
	v_cndmask_b32_e32 v9, 0x7f800000, v9, vcc_lo
	v_cmp_nlt_f32_e32 vcc_lo, 0x42b17218, v23
	s_delay_alu instid0(VALU_DEP_2) | instskip(SKIP_3) | instid1(VALU_DEP_1)
	v_fmac_f32_e32 v8, v9, v22
	s_waitcnt vmcnt(1)
	v_dual_cndmask_b32 v10, 0x7f800000, v11 :: v_dual_fmac_f32 v7, v2, v9
	s_waitcnt vmcnt(0)
	v_dual_fmac_f32 v8, v10, v24 :: v_dual_fmac_f32 v7, v3, v10
	s_cbranch_scc0 .LBB28_14
; %bb.15:
	s_and_b32 s0, s11, 7
	s_delay_alu instid0(SALU_CYCLE_1)
	s_cmp_eq_u32 s0, 0
	s_cbranch_scc0 .LBB28_18
	s_branch .LBB28_20
.LBB28_16:
	v_mov_b32_e32 v0, 0x7fc00000
	s_branch .LBB28_21
.LBB28_17:
	v_mov_b32_e32 v8, 0
	s_mov_b32 s12, 0
	s_and_b32 s0, s11, 7
	s_delay_alu instid0(SALU_CYCLE_1)
	s_cmp_eq_u32 s0, 0
	s_cbranch_scc1 .LBB28_20
.LBB28_18:
	v_lshl_or_b32 v0, s12, 7, v0
	v_mov_b32_e32 v1, 0
	s_lshl_b32 s1, s12, 3
	s_delay_alu instid0(SALU_CYCLE_1)
	s_add_i32 s1, s1, 0
	s_set_inst_prefetch_distance 0x1
	.p2align	6
.LBB28_19:                              ; =>This Inner Loop Header: Depth=1
	s_delay_alu instid0(VALU_DEP_1) | instskip(SKIP_2) | instid1(VALU_DEP_2)
	v_lshlrev_b64 v[2:3], 2, v[0:1]
	s_add_i32 s0, s0, -1
	v_add_nc_u32_e32 v0, 0x80, v0
	v_add_co_u32 v2, vcc_lo, s6, v2
	s_delay_alu instid0(VALU_DEP_3)
	v_add_co_ci_u32_e32 v3, vcc_lo, s7, v3, vcc_lo
	global_load_b32 v4, v[2:3], off
	v_mov_b32_e32 v2, s1
	s_add_i32 s1, s1, 8
	s_cmp_lg_u32 s0, 0
	ds_load_b64 v[2:3], v2
	s_waitcnt lgkmcnt(0)
	v_sub_f32_e32 v2, v2, v6
	s_delay_alu instid0(VALU_DEP_1) | instskip(SKIP_1) | instid1(VALU_DEP_2)
	v_mul_f32_e32 v9, 0x3fb8aa3b, v2
	v_cmp_ngt_f32_e32 vcc_lo, 0xc2ce8ed0, v2
	v_fma_f32 v10, 0x3fb8aa3b, v2, -v9
	v_rndne_f32_e32 v11, v9
	s_delay_alu instid0(VALU_DEP_1) | instskip(NEXT) | instid1(VALU_DEP_1)
	v_dual_fmac_f32 v10, 0x32a5705f, v2 :: v_dual_sub_f32 v9, v9, v11
	v_add_f32_e32 v9, v9, v10
	v_cvt_i32_f32_e32 v10, v11
	s_delay_alu instid0(VALU_DEP_2) | instskip(SKIP_2) | instid1(VALU_DEP_1)
	v_exp_f32_e32 v9, v9
	s_waitcnt_depctr 0xfff
	v_ldexp_f32 v9, v9, v10
	v_cndmask_b32_e32 v9, 0, v9, vcc_lo
	v_cmp_nlt_f32_e32 vcc_lo, 0x42b17218, v2
	s_delay_alu instid0(VALU_DEP_2) | instskip(SKIP_1) | instid1(VALU_DEP_1)
	v_cndmask_b32_e32 v2, 0x7f800000, v9, vcc_lo
	s_waitcnt vmcnt(0)
	v_dual_fmac_f32 v8, v2, v3 :: v_dual_fmac_f32 v7, v4, v2
	s_cbranch_scc1 .LBB28_19
.LBB28_20:
	s_set_inst_prefetch_distance 0x2
	s_delay_alu instid0(VALU_DEP_1) | instskip(NEXT) | instid1(VALU_DEP_1)
	v_div_scale_f32 v0, null, v8, v8, v7
	v_rcp_f32_e32 v1, v0
	s_waitcnt_depctr 0xfff
	v_fma_f32 v2, -v0, v1, 1.0
	s_delay_alu instid0(VALU_DEP_1) | instskip(SKIP_1) | instid1(VALU_DEP_1)
	v_fmac_f32_e32 v1, v2, v1
	v_div_scale_f32 v2, vcc_lo, v7, v8, v7
	v_mul_f32_e32 v3, v2, v1
	s_delay_alu instid0(VALU_DEP_1) | instskip(NEXT) | instid1(VALU_DEP_1)
	v_fma_f32 v4, -v0, v3, v2
	v_fmac_f32_e32 v3, v4, v1
	s_delay_alu instid0(VALU_DEP_1) | instskip(NEXT) | instid1(VALU_DEP_1)
	v_fma_f32 v0, -v0, v3, v2
	v_div_fmas_f32 v0, v0, v1, v3
	s_delay_alu instid0(VALU_DEP_1)
	v_div_fixup_f32 v0, v0, v8, v7
.LBB28_21:
	s_lshl_b32 s0, s10, 7
	s_delay_alu instid0(SALU_CYCLE_1) | instskip(NEXT) | instid1(SALU_CYCLE_1)
	s_ashr_i32 s1, s0, 31
	s_lshl_b64 s[0:1], s[0:1], 2
	s_delay_alu instid0(SALU_CYCLE_1)
	s_add_u32 s0, s8, s0
	s_addc_u32 s1, s9, s1
	global_store_b32 v5, v0, s[0:1]
	s_nop 0
	s_sendmsg sendmsg(MSG_DEALLOC_VGPRS)
	s_endpgm
	.section	.rodata,"a",@progbits
	.p2align	6, 0x0
	.amdhsa_kernel _ZL26flash_attn_combine_resultsILi128EEvPKfPK15HIP_vector_typeIfLj2EEPfi
		.amdhsa_group_segment_fixed_size 0
		.amdhsa_private_segment_fixed_size 0
		.amdhsa_kernarg_size 288
		.amdhsa_user_sgpr_count 13
		.amdhsa_user_sgpr_dispatch_ptr 0
		.amdhsa_user_sgpr_queue_ptr 0
		.amdhsa_user_sgpr_kernarg_segment_ptr 1
		.amdhsa_user_sgpr_dispatch_id 0
		.amdhsa_user_sgpr_private_segment_size 0
		.amdhsa_wavefront_size32 1
		.amdhsa_uses_dynamic_stack 0
		.amdhsa_enable_private_segment 0
		.amdhsa_system_sgpr_workgroup_id_x 1
		.amdhsa_system_sgpr_workgroup_id_y 1
		.amdhsa_system_sgpr_workgroup_id_z 1
		.amdhsa_system_sgpr_workgroup_info 0
		.amdhsa_system_vgpr_workitem_id 0
		.amdhsa_next_free_vgpr 55
		.amdhsa_next_free_sgpr 16
		.amdhsa_reserve_vcc 1
		.amdhsa_float_round_mode_32 0
		.amdhsa_float_round_mode_16_64 0
		.amdhsa_float_denorm_mode_32 3
		.amdhsa_float_denorm_mode_16_64 3
		.amdhsa_dx10_clamp 1
		.amdhsa_ieee_mode 1
		.amdhsa_fp16_overflow 0
		.amdhsa_workgroup_processor_mode 1
		.amdhsa_memory_ordered 1
		.amdhsa_forward_progress 0
		.amdhsa_shared_vgpr_count 0
		.amdhsa_exception_fp_ieee_invalid_op 0
		.amdhsa_exception_fp_denorm_src 0
		.amdhsa_exception_fp_ieee_div_zero 0
		.amdhsa_exception_fp_ieee_overflow 0
		.amdhsa_exception_fp_ieee_underflow 0
		.amdhsa_exception_fp_ieee_inexact 0
		.amdhsa_exception_int_div_zero 0
	.end_amdhsa_kernel
	.section	.text._ZL26flash_attn_combine_resultsILi128EEvPKfPK15HIP_vector_typeIfLj2EEPfi,"axG",@progbits,_ZL26flash_attn_combine_resultsILi128EEvPKfPK15HIP_vector_typeIfLj2EEPfi,comdat
.Lfunc_end28:
	.size	_ZL26flash_attn_combine_resultsILi128EEvPKfPK15HIP_vector_typeIfLj2EEPfi, .Lfunc_end28-_ZL26flash_attn_combine_resultsILi128EEvPKfPK15HIP_vector_typeIfLj2EEPfi
                                        ; -- End function
	.section	.AMDGPU.csdata,"",@progbits
; Kernel info:
; codeLenInByte = 2352
; NumSgprs: 18
; NumVgprs: 55
; ScratchSize: 0
; MemoryBound: 0
; FloatMode: 240
; IeeeMode: 1
; LDSByteSize: 0 bytes/workgroup (compile time only)
; SGPRBlocks: 2
; VGPRBlocks: 6
; NumSGPRsForWavesPerEU: 18
; NumVGPRsForWavesPerEU: 55
; Occupancy: 16
; WaveLimiterHint : 0
; COMPUTE_PGM_RSRC2:SCRATCH_EN: 0
; COMPUTE_PGM_RSRC2:USER_SGPR: 13
; COMPUTE_PGM_RSRC2:TRAP_HANDLER: 0
; COMPUTE_PGM_RSRC2:TGID_X_EN: 1
; COMPUTE_PGM_RSRC2:TGID_Y_EN: 1
; COMPUTE_PGM_RSRC2:TGID_Z_EN: 1
; COMPUTE_PGM_RSRC2:TIDIG_COMP_CNT: 0
	.section	.text._ZL18flash_attn_ext_f16ILi256ELi256ELi64ELi1ELb0ELb0EEvPKcS1_S1_S1_S1_PKiPfP15HIP_vector_typeIfLj2EEffffjfiS5_IjLj3EEiiiiiiiiiiiliiliiiiil,"axG",@progbits,_ZL18flash_attn_ext_f16ILi256ELi256ELi64ELi1ELb0ELb0EEvPKcS1_S1_S1_S1_PKiPfP15HIP_vector_typeIfLj2EEffffjfiS5_IjLj3EEiiiiiiiiiiiliiliiiiil,comdat
	.globl	_ZL18flash_attn_ext_f16ILi256ELi256ELi64ELi1ELb0ELb0EEvPKcS1_S1_S1_S1_PKiPfP15HIP_vector_typeIfLj2EEffffjfiS5_IjLj3EEiiiiiiiiiiiliiliiiiil ; -- Begin function _ZL18flash_attn_ext_f16ILi256ELi256ELi64ELi1ELb0ELb0EEvPKcS1_S1_S1_S1_PKiPfP15HIP_vector_typeIfLj2EEffffjfiS5_IjLj3EEiiiiiiiiiiiliiliiiiil
	.p2align	8
	.type	_ZL18flash_attn_ext_f16ILi256ELi256ELi64ELi1ELb0ELb0EEvPKcS1_S1_S1_S1_PKiPfP15HIP_vector_typeIfLj2EEffffjfiS5_IjLj3EEiiiiiiiiiiiliiliiiiil,@function
_ZL18flash_attn_ext_f16ILi256ELi256ELi64ELi1ELb0ELb0EEvPKcS1_S1_S1_S1_PKiPfP15HIP_vector_typeIfLj2EEffffjfiS5_IjLj3EEiiiiiiiiiiiliiliiiiil: ; @_ZL18flash_attn_ext_f16ILi256ELi256ELi64ELi1ELb0ELb0EEvPKcS1_S1_S1_S1_PKiPfP15HIP_vector_typeIfLj2EEffffjfiS5_IjLj3EEiiiiiiiiiiiliiliiiiil
; %bb.0:
	v_mov_b32_e32 v0, 0x6e3
	s_add_u32 s8, s0, 0xd0
	s_addc_u32 s9, s1, 0
	s_mov_b32 s32, 0
	s_getpc_b64 s[0:1]
	s_add_u32 s0, s0, _ZL14no_device_codePKciS0_iS0_@rel32@lo+4
	s_addc_u32 s1, s1, _ZL14no_device_codePKciS0_iS0_@rel32@hi+12
	s_delay_alu instid0(SALU_CYCLE_1)
	s_swappc_b64 s[30:31], s[0:1]
	.section	.rodata,"a",@progbits
	.p2align	6, 0x0
	.amdhsa_kernel _ZL18flash_attn_ext_f16ILi256ELi256ELi64ELi1ELb0ELb0EEvPKcS1_S1_S1_S1_PKiPfP15HIP_vector_typeIfLj2EEffffjfiS5_IjLj3EEiiiiiiiiiiiliiliiiiil
		.amdhsa_group_segment_fixed_size 0
		.amdhsa_private_segment_fixed_size 16
		.amdhsa_kernarg_size 464
		.amdhsa_user_sgpr_count 15
		.amdhsa_user_sgpr_dispatch_ptr 0
		.amdhsa_user_sgpr_queue_ptr 0
		.amdhsa_user_sgpr_kernarg_segment_ptr 1
		.amdhsa_user_sgpr_dispatch_id 0
		.amdhsa_user_sgpr_private_segment_size 0
		.amdhsa_wavefront_size32 1
		.amdhsa_uses_dynamic_stack 0
		.amdhsa_enable_private_segment 1
		.amdhsa_system_sgpr_workgroup_id_x 1
		.amdhsa_system_sgpr_workgroup_id_y 0
		.amdhsa_system_sgpr_workgroup_id_z 0
		.amdhsa_system_sgpr_workgroup_info 0
		.amdhsa_system_vgpr_workitem_id 0
		.amdhsa_next_free_vgpr 37
		.amdhsa_next_free_sgpr 34
		.amdhsa_reserve_vcc 1
		.amdhsa_float_round_mode_32 0
		.amdhsa_float_round_mode_16_64 0
		.amdhsa_float_denorm_mode_32 3
		.amdhsa_float_denorm_mode_16_64 3
		.amdhsa_dx10_clamp 1
		.amdhsa_ieee_mode 1
		.amdhsa_fp16_overflow 0
		.amdhsa_workgroup_processor_mode 1
		.amdhsa_memory_ordered 1
		.amdhsa_forward_progress 0
		.amdhsa_shared_vgpr_count 0
		.amdhsa_exception_fp_ieee_invalid_op 0
		.amdhsa_exception_fp_denorm_src 0
		.amdhsa_exception_fp_ieee_div_zero 0
		.amdhsa_exception_fp_ieee_overflow 0
		.amdhsa_exception_fp_ieee_underflow 0
		.amdhsa_exception_fp_ieee_inexact 0
		.amdhsa_exception_int_div_zero 0
	.end_amdhsa_kernel
	.section	.text._ZL18flash_attn_ext_f16ILi256ELi256ELi64ELi1ELb0ELb0EEvPKcS1_S1_S1_S1_PKiPfP15HIP_vector_typeIfLj2EEffffjfiS5_IjLj3EEiiiiiiiiiiiliiliiiiil,"axG",@progbits,_ZL18flash_attn_ext_f16ILi256ELi256ELi64ELi1ELb0ELb0EEvPKcS1_S1_S1_S1_PKiPfP15HIP_vector_typeIfLj2EEffffjfiS5_IjLj3EEiiiiiiiiiiiliiliiiiil,comdat
.Lfunc_end29:
	.size	_ZL18flash_attn_ext_f16ILi256ELi256ELi64ELi1ELb0ELb0EEvPKcS1_S1_S1_S1_PKiPfP15HIP_vector_typeIfLj2EEffffjfiS5_IjLj3EEiiiiiiiiiiiliiliiiiil, .Lfunc_end29-_ZL18flash_attn_ext_f16ILi256ELi256ELi64ELi1ELb0ELb0EEvPKcS1_S1_S1_S1_PKiPfP15HIP_vector_typeIfLj2EEffffjfiS5_IjLj3EEiiiiiiiiiiiliiliiiiil
                                        ; -- End function
	.section	.AMDGPU.csdata,"",@progbits
; Kernel info:
; codeLenInByte = 52
; NumSgprs: 36
; NumVgprs: 37
; ScratchSize: 16
; MemoryBound: 0
; FloatMode: 240
; IeeeMode: 1
; LDSByteSize: 0 bytes/workgroup (compile time only)
; SGPRBlocks: 4
; VGPRBlocks: 4
; NumSGPRsForWavesPerEU: 36
; NumVGPRsForWavesPerEU: 37
; Occupancy: 16
; WaveLimiterHint : 1
; COMPUTE_PGM_RSRC2:SCRATCH_EN: 1
; COMPUTE_PGM_RSRC2:USER_SGPR: 15
; COMPUTE_PGM_RSRC2:TRAP_HANDLER: 0
; COMPUTE_PGM_RSRC2:TGID_X_EN: 1
; COMPUTE_PGM_RSRC2:TGID_Y_EN: 0
; COMPUTE_PGM_RSRC2:TGID_Z_EN: 0
; COMPUTE_PGM_RSRC2:TIDIG_COMP_CNT: 0
	.section	.text._ZL18flash_attn_ext_f16ILi256ELi256ELi64ELi1ELb1ELb0EEvPKcS1_S1_S1_S1_PKiPfP15HIP_vector_typeIfLj2EEffffjfiS5_IjLj3EEiiiiiiiiiiiliiliiiiil,"axG",@progbits,_ZL18flash_attn_ext_f16ILi256ELi256ELi64ELi1ELb1ELb0EEvPKcS1_S1_S1_S1_PKiPfP15HIP_vector_typeIfLj2EEffffjfiS5_IjLj3EEiiiiiiiiiiiliiliiiiil,comdat
	.globl	_ZL18flash_attn_ext_f16ILi256ELi256ELi64ELi1ELb1ELb0EEvPKcS1_S1_S1_S1_PKiPfP15HIP_vector_typeIfLj2EEffffjfiS5_IjLj3EEiiiiiiiiiiiliiliiiiil ; -- Begin function _ZL18flash_attn_ext_f16ILi256ELi256ELi64ELi1ELb1ELb0EEvPKcS1_S1_S1_S1_PKiPfP15HIP_vector_typeIfLj2EEffffjfiS5_IjLj3EEiiiiiiiiiiiliiliiiiil
	.p2align	8
	.type	_ZL18flash_attn_ext_f16ILi256ELi256ELi64ELi1ELb1ELb0EEvPKcS1_S1_S1_S1_PKiPfP15HIP_vector_typeIfLj2EEffffjfiS5_IjLj3EEiiiiiiiiiiiliiliiiiil,@function
_ZL18flash_attn_ext_f16ILi256ELi256ELi64ELi1ELb1ELb0EEvPKcS1_S1_S1_S1_PKiPfP15HIP_vector_typeIfLj2EEffffjfiS5_IjLj3EEiiiiiiiiiiiliiliiiiil: ; @_ZL18flash_attn_ext_f16ILi256ELi256ELi64ELi1ELb1ELb0EEvPKcS1_S1_S1_S1_PKiPfP15HIP_vector_typeIfLj2EEffffjfiS5_IjLj3EEiiiiiiiiiiiliiliiiiil
; %bb.0:
	v_mov_b32_e32 v0, 0x6e3
	s_add_u32 s8, s0, 0xd0
	s_addc_u32 s9, s1, 0
	s_mov_b32 s32, 0
	s_getpc_b64 s[0:1]
	s_add_u32 s0, s0, _ZL14no_device_codePKciS0_iS0_@rel32@lo+4
	s_addc_u32 s1, s1, _ZL14no_device_codePKciS0_iS0_@rel32@hi+12
	s_delay_alu instid0(SALU_CYCLE_1)
	s_swappc_b64 s[30:31], s[0:1]
	.section	.rodata,"a",@progbits
	.p2align	6, 0x0
	.amdhsa_kernel _ZL18flash_attn_ext_f16ILi256ELi256ELi64ELi1ELb1ELb0EEvPKcS1_S1_S1_S1_PKiPfP15HIP_vector_typeIfLj2EEffffjfiS5_IjLj3EEiiiiiiiiiiiliiliiiiil
		.amdhsa_group_segment_fixed_size 0
		.amdhsa_private_segment_fixed_size 16
		.amdhsa_kernarg_size 464
		.amdhsa_user_sgpr_count 15
		.amdhsa_user_sgpr_dispatch_ptr 0
		.amdhsa_user_sgpr_queue_ptr 0
		.amdhsa_user_sgpr_kernarg_segment_ptr 1
		.amdhsa_user_sgpr_dispatch_id 0
		.amdhsa_user_sgpr_private_segment_size 0
		.amdhsa_wavefront_size32 1
		.amdhsa_uses_dynamic_stack 0
		.amdhsa_enable_private_segment 1
		.amdhsa_system_sgpr_workgroup_id_x 1
		.amdhsa_system_sgpr_workgroup_id_y 0
		.amdhsa_system_sgpr_workgroup_id_z 0
		.amdhsa_system_sgpr_workgroup_info 0
		.amdhsa_system_vgpr_workitem_id 0
		.amdhsa_next_free_vgpr 37
		.amdhsa_next_free_sgpr 34
		.amdhsa_reserve_vcc 1
		.amdhsa_float_round_mode_32 0
		.amdhsa_float_round_mode_16_64 0
		.amdhsa_float_denorm_mode_32 3
		.amdhsa_float_denorm_mode_16_64 3
		.amdhsa_dx10_clamp 1
		.amdhsa_ieee_mode 1
		.amdhsa_fp16_overflow 0
		.amdhsa_workgroup_processor_mode 1
		.amdhsa_memory_ordered 1
		.amdhsa_forward_progress 0
		.amdhsa_shared_vgpr_count 0
		.amdhsa_exception_fp_ieee_invalid_op 0
		.amdhsa_exception_fp_denorm_src 0
		.amdhsa_exception_fp_ieee_div_zero 0
		.amdhsa_exception_fp_ieee_overflow 0
		.amdhsa_exception_fp_ieee_underflow 0
		.amdhsa_exception_fp_ieee_inexact 0
		.amdhsa_exception_int_div_zero 0
	.end_amdhsa_kernel
	.section	.text._ZL18flash_attn_ext_f16ILi256ELi256ELi64ELi1ELb1ELb0EEvPKcS1_S1_S1_S1_PKiPfP15HIP_vector_typeIfLj2EEffffjfiS5_IjLj3EEiiiiiiiiiiiliiliiiiil,"axG",@progbits,_ZL18flash_attn_ext_f16ILi256ELi256ELi64ELi1ELb1ELb0EEvPKcS1_S1_S1_S1_PKiPfP15HIP_vector_typeIfLj2EEffffjfiS5_IjLj3EEiiiiiiiiiiiliiliiiiil,comdat
.Lfunc_end30:
	.size	_ZL18flash_attn_ext_f16ILi256ELi256ELi64ELi1ELb1ELb0EEvPKcS1_S1_S1_S1_PKiPfP15HIP_vector_typeIfLj2EEffffjfiS5_IjLj3EEiiiiiiiiiiiliiliiiiil, .Lfunc_end30-_ZL18flash_attn_ext_f16ILi256ELi256ELi64ELi1ELb1ELb0EEvPKcS1_S1_S1_S1_PKiPfP15HIP_vector_typeIfLj2EEffffjfiS5_IjLj3EEiiiiiiiiiiiliiliiiiil
                                        ; -- End function
	.section	.AMDGPU.csdata,"",@progbits
; Kernel info:
; codeLenInByte = 52
; NumSgprs: 36
; NumVgprs: 37
; ScratchSize: 16
; MemoryBound: 0
; FloatMode: 240
; IeeeMode: 1
; LDSByteSize: 0 bytes/workgroup (compile time only)
; SGPRBlocks: 4
; VGPRBlocks: 4
; NumSGPRsForWavesPerEU: 36
; NumVGPRsForWavesPerEU: 37
; Occupancy: 16
; WaveLimiterHint : 1
; COMPUTE_PGM_RSRC2:SCRATCH_EN: 1
; COMPUTE_PGM_RSRC2:USER_SGPR: 15
; COMPUTE_PGM_RSRC2:TRAP_HANDLER: 0
; COMPUTE_PGM_RSRC2:TGID_X_EN: 1
; COMPUTE_PGM_RSRC2:TGID_Y_EN: 0
; COMPUTE_PGM_RSRC2:TGID_Z_EN: 0
; COMPUTE_PGM_RSRC2:TIDIG_COMP_CNT: 0
	.section	.text._ZL33flash_attn_stream_k_fixup_uniformILi256ELi64ELi1EEvPfPK15HIP_vector_typeIfLj2EEiiiiiiS1_IjLj3EES5_S5_,"axG",@progbits,_ZL33flash_attn_stream_k_fixup_uniformILi256ELi64ELi1EEvPfPK15HIP_vector_typeIfLj2EEiiiiiiS1_IjLj3EES5_S5_,comdat
	.globl	_ZL33flash_attn_stream_k_fixup_uniformILi256ELi64ELi1EEvPfPK15HIP_vector_typeIfLj2EEiiiiiiS1_IjLj3EES5_S5_ ; -- Begin function _ZL33flash_attn_stream_k_fixup_uniformILi256ELi64ELi1EEvPfPK15HIP_vector_typeIfLj2EEiiiiiiS1_IjLj3EES5_S5_
	.p2align	8
	.type	_ZL33flash_attn_stream_k_fixup_uniformILi256ELi64ELi1EEvPfPK15HIP_vector_typeIfLj2EEiiiiiiS1_IjLj3EES5_S5_,@function
_ZL33flash_attn_stream_k_fixup_uniformILi256ELi64ELi1EEvPfPK15HIP_vector_typeIfLj2EEiiiiiiS1_IjLj3EES5_S5_: ; @_ZL33flash_attn_stream_k_fixup_uniformILi256ELi64ELi1EEvPfPK15HIP_vector_typeIfLj2EEiiiiiiS1_IjLj3EES5_S5_
; %bb.0:
	s_clause 0x1
	s_load_b256 s[4:11], s[0:1], 0x1c
	s_load_b128 s[16:19], s[0:1], 0x3c
	s_waitcnt lgkmcnt(0)
	s_mul_hi_u32 s2, s7, s13
	s_delay_alu instid0(SALU_CYCLE_1) | instskip(NEXT) | instid1(SALU_CYCLE_1)
	s_add_i32 s2, s13, s2
	s_lshr_b32 s2, s2, s8
	s_delay_alu instid0(SALU_CYCLE_1) | instskip(SKIP_2) | instid1(SALU_CYCLE_1)
	s_mul_i32 s3, s2, s9
	s_load_b64 s[8:9], s[0:1], 0x10
	s_sub_i32 s7, s13, s3
	s_mul_hi_u32 s3, s7, s10
	s_delay_alu instid0(SALU_CYCLE_1) | instskip(NEXT) | instid1(SALU_CYCLE_1)
	s_add_i32 s3, s7, s3
	s_lshr_b32 s3, s3, s11
	s_delay_alu instid0(SALU_CYCLE_1) | instskip(NEXT) | instid1(SALU_CYCLE_1)
	s_mul_i32 s10, s3, s16
	s_sub_i32 s10, s7, s10
	s_delay_alu instid0(SALU_CYCLE_1) | instskip(NEXT) | instid1(SALU_CYCLE_1)
	s_mul_hi_u32 s7, s10, s17
	s_add_i32 s7, s10, s7
	s_delay_alu instid0(SALU_CYCLE_1) | instskip(NEXT) | instid1(SALU_CYCLE_1)
	s_lshr_b32 s7, s7, s18
	s_mul_i32 s11, s7, s19
	s_delay_alu instid0(SALU_CYCLE_1) | instskip(NEXT) | instid1(SALU_CYCLE_1)
	s_sub_i32 s10, s10, s11
	s_lshl_b32 s11, s10, 6
	s_delay_alu instid0(SALU_CYCLE_1) | instskip(SKIP_4) | instid1(SALU_CYCLE_1)
	s_add_i32 s11, s11, s14
	s_waitcnt lgkmcnt(0)
	s_cmp_lt_i32 s11, s8
	s_cselect_b32 s11, -1, 0
	s_add_i32 s12, s7, s15
	s_cmp_lt_i32 s12, s5
	s_cselect_b32 s12, -1, 0
	s_delay_alu instid0(SALU_CYCLE_1) | instskip(NEXT) | instid1(SALU_CYCLE_1)
	s_and_b32 s11, s11, s12
	s_and_not1_b32 vcc_lo, exec_lo, s11
	s_cbranch_vccnz .LBB31_6
; %bb.1:
	s_mul_i32 s2, s2, s8
	s_mul_i32 s5, s3, s5
	s_add_i32 s2, s2, s14
	s_delay_alu instid0(SALU_CYCLE_1) | instskip(NEXT) | instid1(SALU_CYCLE_1)
	s_mul_i32 s2, s2, s9
	s_add_i32 s8, s2, s15
	s_load_b128 s[0:3], s[0:1], 0x0
	s_add_i32 s5, s8, s5
	s_mul_i32 s8, s9, s10
	s_add_i32 s5, s5, s7
	s_lshl_b32 s7, s8, 14
	s_lshl_b32 s5, s5, 8
	s_add_i32 s10, s14, s15
	s_add_i32 s7, s7, s5
	s_mul_i32 s5, s13, s6
	v_or_b32_e32 v1, s7, v0
	s_add_i32 s9, s5, s6
	s_delay_alu instid0(VALU_DEP_1) | instskip(NEXT) | instid1(VALU_DEP_1)
	v_ashrrev_i32_e32 v2, 31, v1
	v_lshlrev_b64 v[1:2], 2, v[1:2]
	s_waitcnt lgkmcnt(0)
	s_delay_alu instid0(VALU_DEP_1) | instskip(NEXT) | instid1(VALU_DEP_2)
	v_add_co_u32 v1, vcc_lo, s0, v1
	v_add_co_ci_u32_e32 v2, vcc_lo, s1, v2, vcc_lo
	s_lshl_b32 s0, s9, 6
	s_delay_alu instid0(SALU_CYCLE_1) | instskip(SKIP_2) | instid1(SALU_CYCLE_1)
	s_add_i32 s0, s10, s0
	global_load_b32 v5, v[1:2], off
	s_sub_i32 s0, s0, 64
	s_ashr_i32 s1, s0, 31
	s_delay_alu instid0(SALU_CYCLE_1) | instskip(NEXT) | instid1(SALU_CYCLE_1)
	s_lshl_b64 s[0:1], s[0:1], 3
	s_add_u32 s0, s2, s0
	s_addc_u32 s1, s3, s1
	s_add_i32 s7, s9, -2
	s_load_b32 s11, s[0:1], 0x4
	s_cmp_lt_i32 s7, s5
	s_cbranch_scc1 .LBB31_4
; %bb.2:
	s_lshl_b32 s14, s4, 8
	s_load_b32 s12, s[0:1], 0x0
	s_ashr_i32 s15, s14, 31
	s_delay_alu instid0(SALU_CYCLE_1) | instskip(NEXT) | instid1(SALU_CYCLE_1)
	s_lshl_b64 s[0:1], s[14:15], 2
	s_add_u32 s7, s2, s0
	s_addc_u32 s8, s3, s1
	s_add_i32 s13, s13, 1
	s_lshl_b32 s1, s10, 8
	s_mul_i32 s0, s6, s13
	s_delay_alu instid0(SALU_CYCLE_1)
	s_lshl_b32 s6, s0, 14
	s_lshl_b32 s0, s0, 6
	s_add_i32 s1, s1, s6
	s_add_i32 s0, s10, s0
	v_or_b32_e32 v0, s1, v0
	s_lshl_b32 s1, s4, 6
	s_waitcnt lgkmcnt(0)
	v_mov_b32_e32 v6, s11
	s_add_i32 s0, s0, s1
	s_add_i32 s4, s9, -1
	v_dual_mov_b32 v0, s12 :: v_dual_add_nc_u32 v3, 0xffff8000, v0
	s_addk_i32 s0, 0xff80
.LBB31_3:                               ; =>This Inner Loop Header: Depth=1
	s_delay_alu instid0(VALU_DEP_1) | instskip(SKIP_1) | instid1(SALU_CYCLE_1)
	v_ashrrev_i32_e32 v4, 31, v3
	s_ashr_i32 s1, s0, 31
	s_lshl_b64 s[10:11], s[0:1], 3
	s_delay_alu instid0(SALU_CYCLE_1) | instskip(NEXT) | instid1(VALU_DEP_1)
	s_add_u32 s10, s2, s10
	v_lshlrev_b64 v[7:8], 2, v[3:4]
	s_addc_u32 s11, s3, s11
	s_add_i32 s4, s4, -1
	s_sub_i32 s0, s0, 64
	s_cmp_le_i32 s4, s5
	s_load_b64 s[10:11], s[10:11], 0x0
	v_add_co_u32 v7, vcc_lo, s7, v7
	v_add_co_ci_u32_e32 v8, vcc_lo, s8, v8, vcc_lo
	global_load_b32 v4, v[7:8], off
	v_max_f32_e32 v7, v0, v0
	s_waitcnt lgkmcnt(0)
	v_max_f32_e64 v8, s10, s10
	s_delay_alu instid0(VALU_DEP_1) | instskip(NEXT) | instid1(VALU_DEP_1)
	v_max_f32_e32 v7, v7, v8
	v_sub_f32_e32 v8, s10, v7
	s_delay_alu instid0(VALU_DEP_1) | instskip(NEXT) | instid1(VALU_DEP_1)
	v_dual_sub_f32 v0, v0, v7 :: v_dual_mul_f32 v9, 0x3fb8aa3b, v8
	v_fma_f32 v10, 0x3fb8aa3b, v8, -v9
	v_rndne_f32_e32 v11, v9
	s_delay_alu instid0(VALU_DEP_3) | instskip(NEXT) | instid1(VALU_DEP_2)
	v_mul_f32_e32 v12, 0x3fb8aa3b, v0
	v_dual_fmac_f32 v10, 0x32a5705f, v8 :: v_dual_sub_f32 v9, v9, v11
	v_cvt_i32_f32_e32 v11, v11
	s_delay_alu instid0(VALU_DEP_3) | instskip(SKIP_1) | instid1(VALU_DEP_4)
	v_fma_f32 v13, 0x3fb8aa3b, v0, -v12
	v_rndne_f32_e32 v14, v12
	v_add_f32_e32 v9, v9, v10
	v_cmp_ngt_f32_e32 vcc_lo, 0xc2ce8ed0, v8
	s_delay_alu instid0(VALU_DEP_3) | instskip(NEXT) | instid1(VALU_DEP_3)
	v_sub_f32_e32 v10, v12, v14
	v_exp_f32_e32 v9, v9
	s_waitcnt_depctr 0xfff
	v_ldexp_f32 v9, v9, v11
	v_cvt_i32_f32_e32 v11, v14
	s_delay_alu instid0(VALU_DEP_2) | instskip(SKIP_1) | instid1(VALU_DEP_2)
	v_cndmask_b32_e32 v9, 0, v9, vcc_lo
	v_cmp_nlt_f32_e32 vcc_lo, 0x42b17218, v8
	v_cndmask_b32_e32 v9, 0x7f800000, v9, vcc_lo
	v_cmp_ngt_f32_e32 vcc_lo, 0xc2ce8ed0, v0
	v_fmac_f32_e32 v13, 0x32a5705f, v0
	s_delay_alu instid0(VALU_DEP_1) | instskip(NEXT) | instid1(VALU_DEP_1)
	v_add_f32_e32 v10, v10, v13
	v_exp_f32_e32 v10, v10
	s_waitcnt_depctr 0xfff
	v_ldexp_f32 v10, v10, v11
	s_delay_alu instid0(VALU_DEP_1)
	v_dual_mov_b32 v11, v6 :: v_dual_cndmask_b32 v10, 0, v10
	v_cmp_le_f32_e32 vcc_lo, 0xc1a00000, v8
	s_waitcnt vmcnt(1)
	v_dual_cndmask_b32 v8, 0, v9 :: v_dual_mov_b32 v9, v5
	v_cmp_nlt_f32_e32 vcc_lo, 0x42b17218, v0
	v_cndmask_b32_e32 v5, 0x7f800000, v10, vcc_lo
	s_delay_alu instid0(VALU_DEP_3) | instskip(SKIP_2) | instid1(VALU_DEP_3)
	v_mul_f32_e32 v10, s11, v8
	v_cmp_le_f32_e32 vcc_lo, 0xc1a00000, v0
	v_mov_b32_e32 v0, v7
	v_mov_b32_e32 v6, v10
	s_waitcnt vmcnt(0)
	v_dual_cndmask_b32 v12, 0, v5 :: v_dual_mul_f32 v5, v4, v8
	s_delay_alu instid0(VALU_DEP_1) | instskip(NEXT) | instid1(VALU_DEP_2)
	v_dual_fmac_f32 v6, v11, v12 :: v_dual_add_nc_u32 v3, 0xffffc000, v3
	v_fmac_f32_e32 v5, v9, v12
	s_cbranch_scc0 .LBB31_3
	s_branch .LBB31_5
.LBB31_4:
	s_waitcnt lgkmcnt(0)
	v_mov_b32_e32 v6, s11
.LBB31_5:
	s_waitcnt vmcnt(0)
	s_delay_alu instid0(VALU_DEP_1) | instskip(NEXT) | instid1(VALU_DEP_1)
	v_div_scale_f32 v0, null, v6, v6, v5
	v_rcp_f32_e32 v3, v0
	s_waitcnt_depctr 0xfff
	v_fma_f32 v4, -v0, v3, 1.0
	s_delay_alu instid0(VALU_DEP_1) | instskip(SKIP_1) | instid1(VALU_DEP_1)
	v_fmac_f32_e32 v3, v4, v3
	v_div_scale_f32 v4, vcc_lo, v5, v6, v5
	v_mul_f32_e32 v7, v4, v3
	s_delay_alu instid0(VALU_DEP_1) | instskip(NEXT) | instid1(VALU_DEP_1)
	v_fma_f32 v8, -v0, v7, v4
	v_fmac_f32_e32 v7, v8, v3
	s_delay_alu instid0(VALU_DEP_1) | instskip(NEXT) | instid1(VALU_DEP_1)
	v_fma_f32 v0, -v0, v7, v4
	v_div_fmas_f32 v0, v0, v3, v7
	s_delay_alu instid0(VALU_DEP_1)
	v_div_fixup_f32 v0, v0, v6, v5
	global_store_b32 v[1:2], v0, off
.LBB31_6:
	s_nop 0
	s_sendmsg sendmsg(MSG_DEALLOC_VGPRS)
	s_endpgm
	.section	.rodata,"a",@progbits
	.p2align	6, 0x0
	.amdhsa_kernel _ZL33flash_attn_stream_k_fixup_uniformILi256ELi64ELi1EEvPfPK15HIP_vector_typeIfLj2EEiiiiiiS1_IjLj3EES5_S5_
		.amdhsa_group_segment_fixed_size 0
		.amdhsa_private_segment_fixed_size 0
		.amdhsa_kernarg_size 76
		.amdhsa_user_sgpr_count 13
		.amdhsa_user_sgpr_dispatch_ptr 0
		.amdhsa_user_sgpr_queue_ptr 0
		.amdhsa_user_sgpr_kernarg_segment_ptr 1
		.amdhsa_user_sgpr_dispatch_id 0
		.amdhsa_user_sgpr_private_segment_size 0
		.amdhsa_wavefront_size32 1
		.amdhsa_uses_dynamic_stack 0
		.amdhsa_enable_private_segment 0
		.amdhsa_system_sgpr_workgroup_id_x 1
		.amdhsa_system_sgpr_workgroup_id_y 1
		.amdhsa_system_sgpr_workgroup_id_z 1
		.amdhsa_system_sgpr_workgroup_info 0
		.amdhsa_system_vgpr_workitem_id 0
		.amdhsa_next_free_vgpr 15
		.amdhsa_next_free_sgpr 20
		.amdhsa_reserve_vcc 1
		.amdhsa_float_round_mode_32 0
		.amdhsa_float_round_mode_16_64 0
		.amdhsa_float_denorm_mode_32 3
		.amdhsa_float_denorm_mode_16_64 3
		.amdhsa_dx10_clamp 1
		.amdhsa_ieee_mode 1
		.amdhsa_fp16_overflow 0
		.amdhsa_workgroup_processor_mode 1
		.amdhsa_memory_ordered 1
		.amdhsa_forward_progress 0
		.amdhsa_shared_vgpr_count 0
		.amdhsa_exception_fp_ieee_invalid_op 0
		.amdhsa_exception_fp_denorm_src 0
		.amdhsa_exception_fp_ieee_div_zero 0
		.amdhsa_exception_fp_ieee_overflow 0
		.amdhsa_exception_fp_ieee_underflow 0
		.amdhsa_exception_fp_ieee_inexact 0
		.amdhsa_exception_int_div_zero 0
	.end_amdhsa_kernel
	.section	.text._ZL33flash_attn_stream_k_fixup_uniformILi256ELi64ELi1EEvPfPK15HIP_vector_typeIfLj2EEiiiiiiS1_IjLj3EES5_S5_,"axG",@progbits,_ZL33flash_attn_stream_k_fixup_uniformILi256ELi64ELi1EEvPfPK15HIP_vector_typeIfLj2EEiiiiiiS1_IjLj3EES5_S5_,comdat
.Lfunc_end31:
	.size	_ZL33flash_attn_stream_k_fixup_uniformILi256ELi64ELi1EEvPfPK15HIP_vector_typeIfLj2EEiiiiiiS1_IjLj3EES5_S5_, .Lfunc_end31-_ZL33flash_attn_stream_k_fixup_uniformILi256ELi64ELi1EEvPfPK15HIP_vector_typeIfLj2EEiiiiiiS1_IjLj3EES5_S5_
                                        ; -- End function
	.section	.AMDGPU.csdata,"",@progbits
; Kernel info:
; codeLenInByte = 976
; NumSgprs: 22
; NumVgprs: 15
; ScratchSize: 0
; MemoryBound: 0
; FloatMode: 240
; IeeeMode: 1
; LDSByteSize: 0 bytes/workgroup (compile time only)
; SGPRBlocks: 2
; VGPRBlocks: 1
; NumSGPRsForWavesPerEU: 22
; NumVGPRsForWavesPerEU: 15
; Occupancy: 16
; WaveLimiterHint : 0
; COMPUTE_PGM_RSRC2:SCRATCH_EN: 0
; COMPUTE_PGM_RSRC2:USER_SGPR: 13
; COMPUTE_PGM_RSRC2:TRAP_HANDLER: 0
; COMPUTE_PGM_RSRC2:TGID_X_EN: 1
; COMPUTE_PGM_RSRC2:TGID_Y_EN: 1
; COMPUTE_PGM_RSRC2:TGID_Z_EN: 1
; COMPUTE_PGM_RSRC2:TIDIG_COMP_CNT: 0
	.section	.text._ZL33flash_attn_stream_k_fixup_generalILi256ELi64ELi1EEvPfPK15HIP_vector_typeIfLj2EEiiiiS1_IjLj3EES5_S5_S5_,"axG",@progbits,_ZL33flash_attn_stream_k_fixup_generalILi256ELi64ELi1EEvPfPK15HIP_vector_typeIfLj2EEiiiiS1_IjLj3EES5_S5_S5_,comdat
	.globl	_ZL33flash_attn_stream_k_fixup_generalILi256ELi64ELi1EEvPfPK15HIP_vector_typeIfLj2EEiiiiS1_IjLj3EES5_S5_S5_ ; -- Begin function _ZL33flash_attn_stream_k_fixup_generalILi256ELi64ELi1EEvPfPK15HIP_vector_typeIfLj2EEiiiiS1_IjLj3EES5_S5_S5_
	.p2align	8
	.type	_ZL33flash_attn_stream_k_fixup_generalILi256ELi64ELi1EEvPfPK15HIP_vector_typeIfLj2EEiiiiS1_IjLj3EES5_S5_S5_,@function
_ZL33flash_attn_stream_k_fixup_generalILi256ELi64ELi1EEvPfPK15HIP_vector_typeIfLj2EEiiiiS1_IjLj3EES5_S5_S5_: ; @_ZL33flash_attn_stream_k_fixup_generalILi256ELi64ELi1EEvPfPK15HIP_vector_typeIfLj2EEiiiiS1_IjLj3EES5_S5_S5_
; %bb.0:
	s_clause 0x1
	s_load_b128 s[4:7], s[0:1], 0x10
	s_load_b32 s20, s[0:1], 0x50
	s_mov_b32 s2, 0
	s_waitcnt lgkmcnt(0)
	s_mul_hi_i32 s3, s7, s13
	s_mul_i32 s12, s7, s13
	s_cmp_lg_u64 s[2:3], 0
	s_cbranch_scc0 .LBB32_21
; %bb.1:
	v_cvt_f32_ubyte0_e32 v1, 0
	v_cvt_f32_u32_e32 v2, s20
	s_sub_u32 s10, 0, s20
	s_subb_u32 s11, 0, 0
	s_delay_alu instid0(VALU_DEP_1) | instskip(NEXT) | instid1(VALU_DEP_1)
	v_fmamk_f32 v1, v1, 0x4f800000, v2
	v_rcp_f32_e32 v1, v1
	s_waitcnt_depctr 0xfff
	v_mul_f32_e32 v1, 0x5f7ffffc, v1
	s_delay_alu instid0(VALU_DEP_1) | instskip(NEXT) | instid1(VALU_DEP_1)
	v_mul_f32_e32 v2, 0x2f800000, v1
	v_trunc_f32_e32 v2, v2
	s_delay_alu instid0(VALU_DEP_1) | instskip(SKIP_1) | instid1(VALU_DEP_2)
	v_fmamk_f32 v1, v2, 0xcf800000, v1
	v_cvt_u32_f32_e32 v2, v2
	v_cvt_u32_f32_e32 v1, v1
	s_delay_alu instid0(VALU_DEP_2) | instskip(NEXT) | instid1(VALU_DEP_2)
	v_readfirstlane_b32 s8, v2
	v_readfirstlane_b32 s9, v1
	s_delay_alu instid0(VALU_DEP_2) | instskip(NEXT) | instid1(VALU_DEP_1)
	s_mul_i32 s16, s10, s8
	s_mul_hi_u32 s18, s10, s9
	s_mul_i32 s17, s11, s9
	s_add_i32 s16, s18, s16
	s_mul_i32 s19, s10, s9
	s_add_i32 s16, s16, s17
	s_mul_hi_u32 s18, s9, s19
	s_mul_hi_u32 s21, s8, s19
	s_mul_i32 s17, s8, s19
	s_mul_hi_u32 s19, s9, s16
	s_mul_i32 s9, s9, s16
	s_mul_hi_u32 s22, s8, s16
	s_add_u32 s9, s18, s9
	s_addc_u32 s18, 0, s19
	s_add_u32 s9, s9, s17
	s_mul_i32 s16, s8, s16
	s_addc_u32 s9, s18, s21
	s_addc_u32 s17, s22, 0
	s_add_u32 s9, s9, s16
	s_addc_u32 s16, 0, s17
	v_add_co_u32 v1, s9, v1, s9
	s_delay_alu instid0(VALU_DEP_1) | instskip(SKIP_1) | instid1(VALU_DEP_1)
	s_cmp_lg_u32 s9, 0
	s_addc_u32 s8, s8, s16
	v_readfirstlane_b32 s9, v1
	s_mul_i32 s16, s10, s8
	s_delay_alu instid0(VALU_DEP_1)
	s_mul_hi_u32 s17, s10, s9
	s_mul_i32 s11, s11, s9
	s_add_i32 s16, s17, s16
	s_mul_i32 s10, s10, s9
	s_add_i32 s16, s16, s11
	s_mul_hi_u32 s17, s8, s10
	s_mul_i32 s18, s8, s10
	s_mul_hi_u32 s10, s9, s10
	s_mul_hi_u32 s19, s9, s16
	s_mul_i32 s9, s9, s16
	s_mul_hi_u32 s11, s8, s16
	s_add_u32 s9, s10, s9
	s_addc_u32 s10, 0, s19
	s_add_u32 s9, s9, s18
	s_mul_i32 s16, s8, s16
	s_addc_u32 s9, s10, s17
	s_addc_u32 s10, s11, 0
	s_add_u32 s9, s9, s16
	s_addc_u32 s10, 0, s10
	v_add_co_u32 v1, s9, v1, s9
	s_delay_alu instid0(VALU_DEP_1) | instskip(SKIP_2) | instid1(SALU_CYCLE_1)
	s_cmp_lg_u32 s9, 0
	s_addc_u32 s16, s8, s10
	s_ashr_i32 s8, s3, 31
	s_add_u32 s10, s12, s8
	s_addc_u32 s11, s3, s8
	v_readfirstlane_b32 s3, v1
	s_mov_b32 s9, s8
	s_delay_alu instid0(SALU_CYCLE_1) | instskip(NEXT) | instid1(SALU_CYCLE_1)
	s_xor_b64 s[10:11], s[10:11], s[8:9]
	s_mul_i32 s18, s10, s16
	s_delay_alu instid0(VALU_DEP_1)
	s_mul_hi_u32 s19, s10, s3
	s_mul_hi_u32 s17, s10, s16
	;; [unrolled: 1-line block ×3, first 2 shown]
	s_mul_i32 s3, s11, s3
	s_add_u32 s18, s19, s18
	s_addc_u32 s17, 0, s17
	s_mul_hi_u32 s21, s11, s16
	s_add_u32 s3, s18, s3
	s_mul_i32 s16, s11, s16
	s_addc_u32 s3, s17, s22
	s_addc_u32 s17, s21, 0
	s_add_u32 s3, s3, s16
	s_addc_u32 s16, 0, s17
	s_mul_i32 s18, s20, s3
	s_add_u32 s17, s3, 1
	v_sub_co_u32 v1, s10, s10, s18
	s_mul_hi_u32 s18, s20, s3
	s_addc_u32 s19, s16, 0
	s_mul_i32 s21, s20, s16
	s_delay_alu instid0(VALU_DEP_1)
	v_sub_co_u32 v2, s22, v1, s20
	s_add_u32 s23, s3, 2
	s_addc_u32 s24, s16, 0
	s_add_i32 s18, s18, s21
	s_cmp_lg_u32 s10, 0
	v_readfirstlane_b32 s10, v2
	s_subb_u32 s11, s11, s18
	s_cmp_lg_u32 s22, 0
	s_subb_u32 s18, s11, 0
	s_delay_alu instid0(VALU_DEP_1) | instskip(SKIP_4) | instid1(SALU_CYCLE_1)
	s_cmp_ge_u32 s10, s20
	s_cselect_b32 s10, -1, 0
	s_cmp_eq_u32 s18, 0
	v_readfirstlane_b32 s18, v1
	s_cselect_b32 s10, s10, -1
	s_cmp_lg_u32 s10, 0
	s_cselect_b32 s10, s23, s17
	s_cselect_b32 s17, s24, s19
	s_cmp_ge_u32 s18, s20
	s_cselect_b32 s18, -1, 0
	s_cmp_eq_u32 s11, 0
	s_cselect_b32 s11, s18, -1
	s_delay_alu instid0(SALU_CYCLE_1) | instskip(SKIP_2) | instid1(SALU_CYCLE_1)
	s_cmp_lg_u32 s11, 0
	s_cselect_b32 s11, s17, s16
	s_cselect_b32 s10, s10, s3
	s_xor_b64 s[10:11], s[10:11], s[8:9]
	s_delay_alu instid0(SALU_CYCLE_1)
	s_sub_u32 s16, s10, s8
	s_load_b128 s[8:11], s[0:1], 0x44
	s_and_not1_b32 vcc_lo, exec_lo, s2
	s_cbranch_vccnz .LBB32_3
.LBB32_2:
	v_cvt_f32_u32_e32 v1, s20
	s_sub_i32 s3, 0, s20
	s_delay_alu instid0(VALU_DEP_1) | instskip(SKIP_2) | instid1(VALU_DEP_1)
	v_rcp_iflag_f32_e32 v1, v1
	s_waitcnt_depctr 0xfff
	v_mul_f32_e32 v1, 0x4f7ffffe, v1
	v_cvt_u32_f32_e32 v1, v1
	s_delay_alu instid0(VALU_DEP_1) | instskip(NEXT) | instid1(VALU_DEP_1)
	v_readfirstlane_b32 s2, v1
	s_mul_i32 s3, s3, s2
	s_delay_alu instid0(SALU_CYCLE_1) | instskip(NEXT) | instid1(SALU_CYCLE_1)
	s_mul_hi_u32 s3, s2, s3
	s_add_i32 s2, s2, s3
	s_delay_alu instid0(SALU_CYCLE_1) | instskip(NEXT) | instid1(SALU_CYCLE_1)
	s_mul_hi_u32 s2, s12, s2
	s_mul_i32 s3, s2, s20
	s_waitcnt lgkmcnt(0)
	s_add_i32 s11, s2, 1
	s_sub_i32 s3, s12, s3
	s_delay_alu instid0(SALU_CYCLE_1)
	s_sub_i32 s12, s3, s20
	s_cmp_ge_u32 s3, s20
	s_cselect_b32 s2, s11, s2
	s_cselect_b32 s3, s12, s3
	s_add_i32 s11, s2, 1
	s_cmp_ge_u32 s3, s20
	s_cselect_b32 s16, s11, s2
.LBB32_3:
	s_waitcnt lgkmcnt(0)
	s_add_i32 s11, s13, 1
	s_mov_b32 s2, 0
	s_mul_hi_i32 s3, s7, s11
	s_mul_i32 s11, s7, s11
	s_cmp_lg_u64 s[2:3], 0
	s_cbranch_scc0 .LBB32_22
; %bb.4:
	v_cvt_f32_ubyte0_e32 v1, 0
	v_cvt_f32_u32_e32 v2, s20
	s_sub_u32 s18, 0, s20
	s_subb_u32 s19, 0, 0
	s_delay_alu instid0(VALU_DEP_1) | instskip(NEXT) | instid1(VALU_DEP_1)
	v_fmamk_f32 v1, v1, 0x4f800000, v2
	v_rcp_f32_e32 v1, v1
	s_waitcnt_depctr 0xfff
	v_mul_f32_e32 v1, 0x5f7ffffc, v1
	s_delay_alu instid0(VALU_DEP_1) | instskip(NEXT) | instid1(VALU_DEP_1)
	v_mul_f32_e32 v2, 0x2f800000, v1
	v_trunc_f32_e32 v2, v2
	s_delay_alu instid0(VALU_DEP_1) | instskip(SKIP_1) | instid1(VALU_DEP_2)
	v_fmamk_f32 v1, v2, 0xcf800000, v1
	v_cvt_u32_f32_e32 v2, v2
	v_cvt_u32_f32_e32 v1, v1
	s_delay_alu instid0(VALU_DEP_2) | instskip(NEXT) | instid1(VALU_DEP_2)
	v_readfirstlane_b32 s12, v2
	v_readfirstlane_b32 s17, v1
	s_delay_alu instid0(VALU_DEP_2) | instskip(NEXT) | instid1(VALU_DEP_1)
	s_mul_i32 s21, s18, s12
	s_mul_hi_u32 s23, s18, s17
	s_mul_i32 s22, s19, s17
	s_add_i32 s21, s23, s21
	s_mul_i32 s24, s18, s17
	s_add_i32 s21, s21, s22
	s_mul_hi_u32 s23, s17, s24
	s_mul_hi_u32 s25, s12, s24
	s_mul_i32 s22, s12, s24
	s_mul_hi_u32 s24, s17, s21
	s_mul_i32 s17, s17, s21
	s_mul_hi_u32 s26, s12, s21
	s_add_u32 s17, s23, s17
	s_addc_u32 s23, 0, s24
	s_add_u32 s17, s17, s22
	s_mul_i32 s21, s12, s21
	s_addc_u32 s17, s23, s25
	s_addc_u32 s22, s26, 0
	s_add_u32 s17, s17, s21
	s_addc_u32 s21, 0, s22
	v_add_co_u32 v1, s17, v1, s17
	s_delay_alu instid0(VALU_DEP_1) | instskip(SKIP_1) | instid1(VALU_DEP_1)
	s_cmp_lg_u32 s17, 0
	s_addc_u32 s12, s12, s21
	v_readfirstlane_b32 s17, v1
	s_mul_i32 s21, s18, s12
	s_delay_alu instid0(VALU_DEP_1)
	s_mul_hi_u32 s22, s18, s17
	s_mul_i32 s19, s19, s17
	s_add_i32 s21, s22, s21
	s_mul_i32 s18, s18, s17
	s_add_i32 s21, s21, s19
	s_mul_hi_u32 s22, s12, s18
	s_mul_i32 s23, s12, s18
	s_mul_hi_u32 s18, s17, s18
	s_mul_hi_u32 s24, s17, s21
	s_mul_i32 s17, s17, s21
	s_mul_hi_u32 s19, s12, s21
	s_add_u32 s17, s18, s17
	s_addc_u32 s18, 0, s24
	s_add_u32 s17, s17, s23
	s_mul_i32 s21, s12, s21
	s_addc_u32 s17, s18, s22
	s_addc_u32 s18, s19, 0
	s_add_u32 s17, s17, s21
	s_addc_u32 s18, 0, s18
	v_add_co_u32 v1, s17, v1, s17
	s_delay_alu instid0(VALU_DEP_1) | instskip(SKIP_2) | instid1(SALU_CYCLE_1)
	s_cmp_lg_u32 s17, 0
	s_addc_u32 s12, s12, s18
	s_ashr_i32 s18, s3, 31
	s_add_u32 s22, s11, s18
	s_addc_u32 s23, s3, s18
	v_readfirstlane_b32 s3, v1
	s_mov_b32 s19, s18
	s_delay_alu instid0(SALU_CYCLE_1) | instskip(NEXT) | instid1(SALU_CYCLE_1)
	s_xor_b64 s[22:23], s[22:23], s[18:19]
	s_mul_i32 s21, s22, s12
	s_delay_alu instid0(VALU_DEP_1)
	s_mul_hi_u32 s24, s22, s3
	s_mul_hi_u32 s17, s22, s12
	;; [unrolled: 1-line block ×3, first 2 shown]
	s_mul_i32 s3, s23, s3
	s_add_u32 s21, s24, s21
	s_addc_u32 s17, 0, s17
	s_mul_hi_u32 s25, s23, s12
	s_add_u32 s3, s21, s3
	s_mul_i32 s12, s23, s12
	s_addc_u32 s3, s17, s26
	s_addc_u32 s17, s25, 0
	s_add_u32 s3, s3, s12
	s_addc_u32 s12, 0, s17
	s_mul_i32 s21, s20, s3
	s_add_u32 s17, s3, 1
	v_sub_co_u32 v1, s21, s22, s21
	s_mul_hi_u32 s22, s20, s3
	s_addc_u32 s24, s12, 0
	s_mul_i32 s25, s20, s12
	s_delay_alu instid0(VALU_DEP_1)
	v_sub_co_u32 v2, s26, v1, s20
	s_add_u32 s27, s3, 2
	s_addc_u32 s28, s12, 0
	s_add_i32 s22, s22, s25
	s_cmp_lg_u32 s21, 0
	v_readfirstlane_b32 s21, v2
	s_subb_u32 s22, s23, s22
	s_cmp_lg_u32 s26, 0
	s_subb_u32 s23, s22, 0
	s_delay_alu instid0(VALU_DEP_1) | instskip(SKIP_4) | instid1(SALU_CYCLE_1)
	s_cmp_ge_u32 s21, s20
	s_cselect_b32 s21, -1, 0
	s_cmp_eq_u32 s23, 0
	v_readfirstlane_b32 s23, v1
	s_cselect_b32 s21, s21, -1
	s_cmp_lg_u32 s21, 0
	s_cselect_b32 s17, s27, s17
	s_cselect_b32 s21, s28, s24
	s_cmp_ge_u32 s23, s20
	s_cselect_b32 s23, -1, 0
	s_cmp_eq_u32 s22, 0
	s_cselect_b32 s22, s23, -1
	s_delay_alu instid0(SALU_CYCLE_1) | instskip(SKIP_2) | instid1(SALU_CYCLE_1)
	s_cmp_lg_u32 s22, 0
	s_cselect_b32 s23, s21, s12
	s_cselect_b32 s22, s17, s3
	s_xor_b64 s[22:23], s[22:23], s[18:19]
	s_delay_alu instid0(SALU_CYCLE_1)
	s_sub_u32 s18, s22, s18
	s_and_not1_b32 vcc_lo, exec_lo, s2
	s_cbranch_vccnz .LBB32_6
.LBB32_5:
	v_cvt_f32_u32_e32 v1, s20
	s_sub_i32 s3, 0, s20
	s_delay_alu instid0(VALU_DEP_1) | instskip(SKIP_2) | instid1(VALU_DEP_1)
	v_rcp_iflag_f32_e32 v1, v1
	s_waitcnt_depctr 0xfff
	v_mul_f32_e32 v1, 0x4f7ffffe, v1
	v_cvt_u32_f32_e32 v1, v1
	s_delay_alu instid0(VALU_DEP_1) | instskip(NEXT) | instid1(VALU_DEP_1)
	v_readfirstlane_b32 s2, v1
	s_mul_i32 s3, s3, s2
	s_delay_alu instid0(SALU_CYCLE_1) | instskip(NEXT) | instid1(SALU_CYCLE_1)
	s_mul_hi_u32 s3, s2, s3
	s_add_i32 s2, s2, s3
	s_delay_alu instid0(SALU_CYCLE_1) | instskip(NEXT) | instid1(SALU_CYCLE_1)
	s_mul_hi_u32 s2, s11, s2
	s_mul_i32 s3, s2, s20
	s_delay_alu instid0(SALU_CYCLE_1)
	s_sub_i32 s3, s11, s3
	s_add_i32 s11, s2, 1
	s_sub_i32 s12, s3, s20
	s_cmp_ge_u32 s3, s20
	s_cselect_b32 s2, s11, s2
	s_cselect_b32 s3, s12, s3
	s_add_i32 s11, s2, 1
	s_cmp_ge_u32 s3, s20
	s_cselect_b32 s18, s11, s2
.LBB32_6:
	s_delay_alu instid0(SALU_CYCLE_1) | instskip(SKIP_3) | instid1(SALU_CYCLE_1)
	s_cmp_eq_u32 s16, s18
	s_mul_hi_u32 s2, s16, s8
	s_cselect_b32 s3, -1, 0
	s_add_i32 s2, s2, s16
	s_lshr_b32 s11, s2, s9
	s_delay_alu instid0(SALU_CYCLE_1) | instskip(NEXT) | instid1(SALU_CYCLE_1)
	s_mul_i32 s2, s11, s10
	s_cmp_eq_u32 s2, s16
	s_mul_hi_u32 s2, s18, s8
	s_cselect_b32 s12, -1, 0
	s_add_i32 s2, s2, s18
	s_delay_alu instid0(SALU_CYCLE_1) | instskip(NEXT) | instid1(SALU_CYCLE_1)
	s_lshr_b32 s2, s2, s9
	s_cmp_eq_u32 s11, s2
	s_mul_i32 s2, s2, s10
	s_cselect_b32 s17, -1, 0
	s_cmp_lg_u32 s2, s18
	s_cselect_b32 s2, -1, 0
	s_or_b32 s3, s3, s12
	s_and_b32 s2, s17, s2
	s_delay_alu instid0(SALU_CYCLE_1) | instskip(NEXT) | instid1(SALU_CYCLE_1)
	s_or_b32 s2, s3, s2
	s_and_b32 vcc_lo, exec_lo, s2
	s_cbranch_vccnz .LBB32_24
; %bb.7:
	s_load_b256 s[24:31], s[0:1], 0x20
	s_waitcnt lgkmcnt(0)
	s_mul_hi_u32 s2, s16, s24
	s_delay_alu instid0(SALU_CYCLE_1) | instskip(NEXT) | instid1(SALU_CYCLE_1)
	s_add_i32 s2, s2, s16
	s_lshr_b32 s18, s2, s25
	s_load_b32 s2, s[0:1], 0x40
	s_mul_i32 s3, s18, s26
	s_delay_alu instid0(SALU_CYCLE_1) | instskip(NEXT) | instid1(SALU_CYCLE_1)
	s_sub_i32 s3, s16, s3
	s_mul_hi_u32 s12, s3, s27
	s_delay_alu instid0(SALU_CYCLE_1) | instskip(NEXT) | instid1(SALU_CYCLE_1)
	s_add_i32 s12, s3, s12
	s_lshr_b32 s21, s12, s28
	s_delay_alu instid0(SALU_CYCLE_1) | instskip(NEXT) | instid1(SALU_CYCLE_1)
	s_mul_i32 s12, s21, s29
	s_sub_i32 s3, s3, s12
	s_delay_alu instid0(SALU_CYCLE_1) | instskip(NEXT) | instid1(SALU_CYCLE_1)
	s_mul_hi_u32 s12, s3, s30
	s_add_i32 s12, s3, s12
	s_delay_alu instid0(SALU_CYCLE_1) | instskip(SKIP_3) | instid1(SALU_CYCLE_1)
	s_lshr_b32 s22, s12, s31
	s_mov_b32 s12, 0
	s_waitcnt lgkmcnt(0)
	s_mul_i32 s2, s22, s2
	s_sub_i32 s2, s3, s2
	s_delay_alu instid0(SALU_CYCLE_1) | instskip(NEXT) | instid1(SALU_CYCLE_1)
	s_mul_hi_u32 s3, s2, s8
	s_add_i32 s2, s2, s3
	s_delay_alu instid0(SALU_CYCLE_1) | instskip(NEXT) | instid1(SALU_CYCLE_1)
	s_lshr_b32 s23, s2, s9
	s_lshl_b32 s2, s23, 6
	s_delay_alu instid0(SALU_CYCLE_1) | instskip(NEXT) | instid1(SALU_CYCLE_1)
	s_add_i32 s2, s2, s14
	s_cmp_lt_i32 s2, s4
	s_cselect_b32 s2, -1, 0
	s_add_i32 s3, s22, s15
	s_delay_alu instid0(SALU_CYCLE_1) | instskip(SKIP_1) | instid1(SALU_CYCLE_1)
	s_cmp_lt_i32 s3, s6
	s_cselect_b32 s3, -1, 0
	s_and_b32 s2, s2, s3
	s_delay_alu instid0(SALU_CYCLE_1)
	s_and_not1_b32 vcc_lo, exec_lo, s2
	s_cbranch_vccnz .LBB32_24
; %bb.8:
	s_load_b128 s[0:3], s[0:1], 0x0
	s_lshl_b32 s24, s20, 8
	s_mov_b32 s25, s12
	s_add_i32 s17, s14, s15
	s_lshl_b64 s[24:25], s[24:25], 2
	s_mul_i32 s4, s18, s4
	s_mul_i32 s21, s21, s6
	v_cvt_f32_ubyte0_e32 v4, 0
	v_cvt_f32_u32_e32 v5, s20
	s_waitcnt lgkmcnt(0)
	s_add_u32 s18, s2, s24
	s_addc_u32 s19, s3, s25
	s_add_i32 s4, s4, s14
	s_delay_alu instid0(SALU_CYCLE_1) | instskip(SKIP_4) | instid1(SALU_CYCLE_1)
	s_mul_i32 s4, s4, s5
	s_mul_i32 s5, s5, s23
	s_add_i32 s4, s4, s15
	s_lshl_b32 s5, s5, 14
	s_add_i32 s4, s4, s21
	s_add_i32 s4, s4, s22
	s_delay_alu instid0(SALU_CYCLE_1) | instskip(NEXT) | instid1(SALU_CYCLE_1)
	s_lshl_b32 s4, s4, 8
	s_add_i32 s5, s5, s4
	s_delay_alu instid0(SALU_CYCLE_1) | instskip(SKIP_1) | instid1(VALU_DEP_2)
	v_or_b32_e32 v1, s5, v0
	v_lshl_or_b32 v0, s17, 8, v0
	v_ashrrev_i32_e32 v2, 31, v1
	s_delay_alu instid0(VALU_DEP_1) | instskip(NEXT) | instid1(VALU_DEP_1)
	v_lshlrev_b64 v[1:2], 2, v[1:2]
	v_add_co_u32 v1, vcc_lo, s0, v1
	s_delay_alu instid0(VALU_DEP_2) | instskip(SKIP_1) | instid1(SALU_CYCLE_1)
	v_add_co_ci_u32_e32 v2, vcc_lo, s1, v2, vcc_lo
	s_lshl_b32 s0, s13, 6
	s_add_i32 s0, s0, s17
	global_load_b32 v3, v[1:2], off
	s_ashr_i32 s1, s0, 31
	s_delay_alu instid0(SALU_CYCLE_1) | instskip(NEXT) | instid1(SALU_CYCLE_1)
	s_lshl_b64 s[0:1], s[0:1], 3
	s_add_u32 s0, s2, s0
	s_addc_u32 s1, s3, s1
	s_add_i32 s14, s13, -1
	s_load_b64 s[0:1], s[0:1], 0x0
	v_fmac_f32_e32 v5, 0x4f800000, v4
	s_sub_i32 s6, 0, s20
	s_waitcnt lgkmcnt(0)
	v_mov_b32_e32 v8, s0
	s_delay_alu instid0(VALU_DEP_2) | instskip(SKIP_2) | instid1(VALU_DEP_2)
	v_rcp_f32_e32 v4, v5
	v_cvt_f32_u32_e32 v5, s20
	v_mov_b32_e32 v7, s1
	v_rcp_iflag_f32_e32 v5, v5
	s_waitcnt_depctr 0xfff
	v_mul_f32_e32 v4, 0x5f7ffffc, v4
	s_delay_alu instid0(VALU_DEP_1) | instskip(SKIP_1) | instid1(VALU_DEP_2)
	v_mul_f32_e32 v6, 0x2f800000, v4
	v_mul_f32_e32 v9, 0x4f7ffffe, v5
	v_trunc_f32_e32 v6, v6
	s_delay_alu instid0(VALU_DEP_1) | instskip(SKIP_1) | instid1(VALU_DEP_4)
	v_fmac_f32_e32 v4, 0xcf800000, v6
	v_cvt_u32_f32_e32 v5, v6
	v_cvt_u32_f32_e32 v6, v9
	s_delay_alu instid0(VALU_DEP_3)
	v_cvt_u32_f32_e32 v4, v4
.LBB32_9:                               ; =>This Inner Loop Header: Depth=1
	s_mul_hi_i32 s13, s14, s7
	s_mul_i32 s4, s14, s7
	s_cmp_lg_u64 s[12:13], 0
	s_mov_b32 s5, -1
                                        ; implicit-def: $sgpr0_sgpr1
	s_cbranch_scc0 .LBB32_11
; %bb.10:                               ;   in Loop: Header=BB32_9 Depth=1
	v_readfirstlane_b32 s0, v4
	v_readfirstlane_b32 s1, v5
	s_sub_u32 s5, 0, s20
	s_subb_u32 s15, 0, 0
	s_delay_alu instid0(VALU_DEP_2) | instskip(NEXT) | instid1(VALU_DEP_1)
	s_mul_hi_u32 s21, s5, s0
	s_mul_i32 s22, s5, s1
	s_mul_i32 s23, s15, s0
	s_add_i32 s21, s21, s22
	s_mul_i32 s22, s5, s0
	s_add_i32 s21, s21, s23
	s_mul_hi_u32 s23, s0, s22
	s_mul_i32 s24, s0, s21
	s_mul_hi_u32 s0, s0, s21
	s_add_u32 s23, s23, s24
	s_mul_i32 s25, s1, s22
	s_addc_u32 s0, 0, s0
	s_mul_hi_u32 s22, s1, s22
	s_mul_hi_u32 s24, s1, s21
	s_add_u32 s23, s23, s25
	s_addc_u32 s0, s0, s22
	s_mul_i32 s21, s1, s21
	s_addc_u32 s22, s24, 0
	s_add_u32 s0, s0, s21
	s_addc_u32 s21, 0, s22
	v_add_co_u32 v9, s0, v4, s0
	s_delay_alu instid0(VALU_DEP_1) | instskip(SKIP_1) | instid1(VALU_DEP_1)
	s_cmp_lg_u32 s0, 0
	s_addc_u32 s1, s1, s21
	v_readfirstlane_b32 s0, v9
	s_mul_i32 s21, s5, s1
	s_delay_alu instid0(VALU_DEP_1)
	s_mul_hi_u32 s22, s5, s0
	s_mul_i32 s15, s15, s0
	s_add_i32 s21, s22, s21
	s_mul_i32 s5, s5, s0
	s_add_i32 s21, s21, s15
	s_mul_hi_u32 s15, s1, s5
	s_mul_i32 s23, s1, s5
	s_mul_i32 s24, s0, s21
	s_mul_hi_u32 s5, s0, s5
	s_mul_hi_u32 s0, s0, s21
	s_add_u32 s5, s5, s24
	s_addc_u32 s0, 0, s0
	s_mul_hi_u32 s22, s1, s21
	s_add_u32 s5, s5, s23
	s_addc_u32 s0, s0, s15
	s_mul_i32 s5, s1, s21
	s_addc_u32 s15, s22, 0
	s_add_u32 s0, s0, s5
	s_addc_u32 s5, 0, s15
	v_add_co_u32 v9, s0, v9, s0
	s_delay_alu instid0(VALU_DEP_1) | instskip(SKIP_2) | instid1(SALU_CYCLE_1)
	s_cmp_lg_u32 s0, 0
	s_addc_u32 s5, s1, s5
	s_ashr_i32 s0, s13, 31
	s_add_u32 s22, s4, s0
	s_addc_u32 s23, s13, s0
	v_readfirstlane_b32 s13, v9
	s_mov_b32 s1, s0
	s_delay_alu instid0(SALU_CYCLE_1) | instskip(NEXT) | instid1(SALU_CYCLE_1)
	s_xor_b64 s[22:23], s[22:23], s[0:1]
	s_mul_i32 s15, s22, s5
	s_delay_alu instid0(VALU_DEP_1)
	s_mul_hi_u32 s21, s22, s13
	s_mul_hi_u32 s24, s22, s5
	s_add_u32 s15, s21, s15
	s_mul_i32 s25, s23, s13
	s_addc_u32 s21, 0, s24
	s_mul_hi_u32 s13, s23, s13
	s_mul_hi_u32 s24, s23, s5
	s_add_u32 s15, s15, s25
	s_addc_u32 s13, s21, s13
	s_mul_i32 s5, s23, s5
	s_addc_u32 s15, s24, 0
	s_add_u32 s5, s13, s5
	s_addc_u32 s13, 0, s15
	s_mul_i32 s21, s20, s5
	s_add_u32 s15, s5, 1
	v_sub_co_u32 v9, s21, s22, s21
	s_addc_u32 s22, s13, 0
	s_mul_i32 s25, s20, s13
	s_mul_hi_u32 s27, s20, s5
	s_delay_alu instid0(VALU_DEP_1)
	v_sub_co_u32 v10, s26, v9, s20
	s_add_u32 s24, s5, 2
	s_addc_u32 s28, s13, 0
	s_add_i32 s27, s27, s25
	s_cmp_lg_u32 s21, 0
	v_readfirstlane_b32 s21, v10
	s_subb_u32 s23, s23, s27
	s_cmp_lg_u32 s26, 0
	s_subb_u32 s25, s23, 0
	s_delay_alu instid0(VALU_DEP_1) | instskip(SKIP_4) | instid1(SALU_CYCLE_1)
	s_cmp_ge_u32 s21, s20
	s_cselect_b32 s21, -1, 0
	s_cmp_eq_u32 s25, 0
	v_readfirstlane_b32 s25, v9
	s_cselect_b32 s21, s21, -1
	s_cmp_lg_u32 s21, 0
	s_cselect_b32 s15, s24, s15
	s_cselect_b32 s21, s28, s22
	s_cmp_ge_u32 s25, s20
	s_cselect_b32 s22, -1, 0
	s_cmp_eq_u32 s23, 0
	s_cselect_b32 s22, s22, -1
	s_delay_alu instid0(SALU_CYCLE_1) | instskip(SKIP_4) | instid1(SALU_CYCLE_1)
	s_cmp_lg_u32 s22, 0
	s_cselect_b32 s23, s21, s13
	s_cselect_b32 s22, s15, s5
	s_mov_b32 s5, 0
	s_xor_b64 s[22:23], s[22:23], s[0:1]
	s_sub_u32 s0, s22, s0
.LBB32_11:                              ;   in Loop: Header=BB32_9 Depth=1
	s_and_not1_b32 vcc_lo, exec_lo, s5
	s_cbranch_vccnz .LBB32_13
; %bb.12:                               ;   in Loop: Header=BB32_9 Depth=1
	v_readfirstlane_b32 s0, v6
	s_delay_alu instid0(VALU_DEP_1) | instskip(NEXT) | instid1(SALU_CYCLE_1)
	s_mul_i32 s1, s6, s0
	s_mul_hi_u32 s1, s0, s1
	s_delay_alu instid0(SALU_CYCLE_1) | instskip(NEXT) | instid1(SALU_CYCLE_1)
	s_add_i32 s0, s0, s1
	s_mul_hi_u32 s0, s4, s0
	s_delay_alu instid0(SALU_CYCLE_1) | instskip(NEXT) | instid1(SALU_CYCLE_1)
	s_mul_i32 s1, s0, s20
	s_sub_i32 s1, s4, s1
	s_add_i32 s4, s0, 1
	s_sub_i32 s5, s1, s20
	s_cmp_ge_u32 s1, s20
	s_cselect_b32 s0, s4, s0
	s_cselect_b32 s1, s5, s1
	s_add_i32 s4, s0, 1
	s_cmp_ge_u32 s1, s20
	s_cselect_b32 s0, s4, s0
.LBB32_13:                              ;   in Loop: Header=BB32_9 Depth=1
	s_delay_alu instid0(SALU_CYCLE_1)
	s_cmp_lg_u32 s16, s0
	s_cbranch_scc0 .LBB32_17
; %bb.14:                               ;   in Loop: Header=BB32_9 Depth=1
	s_add_i32 s1, s14, s20
	s_mov_b32 s5, s12
	s_lshl_b32 s1, s1, 6
	s_mov_b32 s15, s16
	s_add_i32 s4, s1, s17
	s_mul_hi_u32 s1, s0, s8
	s_lshl_b64 s[4:5], s[4:5], 3
	s_delay_alu instid0(SALU_CYCLE_1) | instskip(SKIP_2) | instid1(SALU_CYCLE_1)
	s_add_u32 s4, s2, s4
	s_addc_u32 s5, s3, s5
	s_add_i32 s1, s1, s0
	s_lshr_b32 s1, s1, s9
	s_delay_alu instid0(SALU_CYCLE_1) | instskip(NEXT) | instid1(SALU_CYCLE_1)
	s_mul_i32 s13, s1, s10
	s_cmp_eq_u32 s13, s0
	s_cselect_b32 s13, -1, 0
	s_cmp_lt_u32 s1, s11
	s_cselect_b32 s1, -1, 0
	s_delay_alu instid0(SALU_CYCLE_1)
	s_or_b32 s1, s1, s13
	s_mov_b32 s13, -1
	s_and_b32 vcc_lo, exec_lo, s1
	s_mov_b32 s1, s14
	s_cbranch_vccnz .LBB32_16
; %bb.15:                               ;   in Loop: Header=BB32_9 Depth=1
	s_add_i32 s1, s14, -1
	s_mov_b32 s13, 0
	s_mov_b32 s15, s0
.LBB32_16:                              ;   in Loop: Header=BB32_9 Depth=1
	v_lshl_add_u32 v9, s14, 14, v0
	s_load_b64 s[4:5], s[4:5], 0x0
	s_delay_alu instid0(VALU_DEP_1) | instskip(NEXT) | instid1(VALU_DEP_1)
	v_ashrrev_i32_e32 v10, 31, v9
	v_lshlrev_b64 v[9:10], 2, v[9:10]
	s_delay_alu instid0(VALU_DEP_1) | instskip(NEXT) | instid1(VALU_DEP_2)
	v_add_co_u32 v9, vcc_lo, s18, v9
	v_add_co_ci_u32_e32 v10, vcc_lo, s19, v10, vcc_lo
	s_waitcnt lgkmcnt(0)
	v_max_f32_e64 v11, s4, s4
	global_load_b32 v10, v[9:10], off
	v_max_f32_e32 v9, v8, v8
	s_delay_alu instid0(VALU_DEP_1) | instskip(NEXT) | instid1(VALU_DEP_1)
	v_max_f32_e32 v9, v9, v11
	v_sub_f32_e32 v12, v8, v9
	s_delay_alu instid0(VALU_DEP_1) | instskip(NEXT) | instid1(VALU_DEP_1)
	v_dual_mul_f32 v14, 0x3fb8aa3b, v12 :: v_dual_sub_f32 v11, s4, v9
	v_rndne_f32_e32 v18, v14
	s_delay_alu instid0(VALU_DEP_2) | instskip(SKIP_2) | instid1(VALU_DEP_4)
	v_mul_f32_e32 v13, 0x3fb8aa3b, v11
	v_fma_f32 v17, 0x3fb8aa3b, v12, -v14
	v_cmp_ngt_f32_e32 vcc_lo, 0xc2ce8ed0, v11
	v_sub_f32_e32 v14, v14, v18
	s_delay_alu instid0(VALU_DEP_4) | instskip(SKIP_2) | instid1(VALU_DEP_3)
	v_fma_f32 v15, 0x3fb8aa3b, v11, -v13
	v_rndne_f32_e32 v16, v13
	v_fmac_f32_e32 v17, 0x32a5705f, v12
	v_fmac_f32_e32 v15, 0x32a5705f, v11
	s_delay_alu instid0(VALU_DEP_2) | instskip(NEXT) | instid1(VALU_DEP_1)
	v_dual_sub_f32 v13, v13, v16 :: v_dual_add_f32 v14, v14, v17
	v_add_f32_e32 v13, v13, v15
	s_delay_alu instid0(VALU_DEP_2) | instskip(SKIP_2) | instid1(VALU_DEP_3)
	v_exp_f32_e32 v14, v14
	v_cvt_i32_f32_e32 v15, v16
	v_cvt_i32_f32_e32 v16, v18
	v_exp_f32_e32 v13, v13
	s_waitcnt_depctr 0xfff
	v_ldexp_f32 v14, v14, v16
	v_ldexp_f32 v13, v13, v15
	s_delay_alu instid0(VALU_DEP_1) | instskip(SKIP_1) | instid1(VALU_DEP_4)
	v_cndmask_b32_e32 v13, 0, v13, vcc_lo
	v_cmp_ngt_f32_e32 vcc_lo, 0xc2ce8ed0, v12
	v_cndmask_b32_e32 v14, 0, v14, vcc_lo
	v_cmp_nlt_f32_e32 vcc_lo, 0x42b17218, v11
	s_delay_alu instid0(VALU_DEP_4) | instskip(SKIP_1) | instid1(VALU_DEP_4)
	v_cndmask_b32_e32 v13, 0x7f800000, v13, vcc_lo
	v_cmp_nlt_f32_e32 vcc_lo, 0x42b17218, v12
	v_cndmask_b32_e32 v14, 0x7f800000, v14, vcc_lo
	v_cmp_le_f32_e32 vcc_lo, 0xc1a00000, v11
	s_delay_alu instid0(VALU_DEP_4) | instskip(SKIP_1) | instid1(VALU_DEP_4)
	v_cndmask_b32_e32 v11, 0, v13, vcc_lo
	v_cmp_le_f32_e32 vcc_lo, 0xc1a00000, v12
	v_cndmask_b32_e32 v12, 0, v14, vcc_lo
	s_waitcnt vmcnt(0)
	s_delay_alu instid0(VALU_DEP_3) | instskip(NEXT) | instid1(VALU_DEP_1)
	v_mul_f32_e32 v10, v10, v11
	v_dual_mul_f32 v11, s5, v11 :: v_dual_fmac_f32 v10, v3, v12
	s_delay_alu instid0(VALU_DEP_1)
	v_fmac_f32_e32 v11, v7, v12
	s_cbranch_execz .LBB32_18
	s_branch .LBB32_19
.LBB32_17:                              ;   in Loop: Header=BB32_9 Depth=1
                                        ; implicit-def: $sgpr13
                                        ; implicit-def: $vgpr10
                                        ; implicit-def: $vgpr9
                                        ; implicit-def: $vgpr11
                                        ; implicit-def: $sgpr1
                                        ; implicit-def: $sgpr15
.LBB32_18:                              ;   in Loop: Header=BB32_9 Depth=1
	v_mov_b32_e32 v11, v7
	s_waitcnt vmcnt(0)
	v_dual_mov_b32 v9, v8 :: v_dual_mov_b32 v10, v3
	s_add_i32 s1, s14, -1
	s_mov_b32 s13, 0
	s_mov_b32 s15, s16
.LBB32_19:                              ;   in Loop: Header=BB32_9 Depth=1
	s_and_not1_b32 vcc_lo, exec_lo, s13
	s_cbranch_vccz .LBB32_23
; %bb.20:                               ;   in Loop: Header=BB32_9 Depth=1
	v_dual_mov_b32 v7, v11 :: v_dual_mov_b32 v8, v9
	s_waitcnt vmcnt(0)
	v_mov_b32_e32 v3, v10
	s_mov_b32 s16, s15
	s_mov_b32 s14, s1
	s_branch .LBB32_9
.LBB32_21:
                                        ; implicit-def: $sgpr16_sgpr17
	s_load_b128 s[8:11], s[0:1], 0x44
	s_branch .LBB32_2
.LBB32_22:
                                        ; implicit-def: $sgpr18_sgpr19
	s_branch .LBB32_5
.LBB32_23:
	v_div_scale_f32 v0, null, v11, v11, v10
	s_waitcnt vmcnt(0)
	s_delay_alu instid0(VALU_DEP_1) | instskip(SKIP_2) | instid1(VALU_DEP_1)
	v_rcp_f32_e32 v3, v0
	s_waitcnt_depctr 0xfff
	v_fma_f32 v4, -v0, v3, 1.0
	v_fmac_f32_e32 v3, v4, v3
	v_div_scale_f32 v4, vcc_lo, v10, v11, v10
	s_delay_alu instid0(VALU_DEP_1) | instskip(NEXT) | instid1(VALU_DEP_1)
	v_mul_f32_e32 v5, v4, v3
	v_fma_f32 v6, -v0, v5, v4
	s_delay_alu instid0(VALU_DEP_1) | instskip(NEXT) | instid1(VALU_DEP_1)
	v_fmac_f32_e32 v5, v6, v3
	v_fma_f32 v0, -v0, v5, v4
	s_delay_alu instid0(VALU_DEP_1) | instskip(NEXT) | instid1(VALU_DEP_1)
	v_div_fmas_f32 v0, v0, v3, v5
	v_div_fixup_f32 v0, v0, v11, v10
	global_store_b32 v[1:2], v0, off
.LBB32_24:
	s_nop 0
	s_sendmsg sendmsg(MSG_DEALLOC_VGPRS)
	s_endpgm
	.section	.rodata,"a",@progbits
	.p2align	6, 0x0
	.amdhsa_kernel _ZL33flash_attn_stream_k_fixup_generalILi256ELi64ELi1EEvPfPK15HIP_vector_typeIfLj2EEiiiiS1_IjLj3EES5_S5_S5_
		.amdhsa_group_segment_fixed_size 0
		.amdhsa_private_segment_fixed_size 0
		.amdhsa_kernarg_size 336
		.amdhsa_user_sgpr_count 13
		.amdhsa_user_sgpr_dispatch_ptr 0
		.amdhsa_user_sgpr_queue_ptr 0
		.amdhsa_user_sgpr_kernarg_segment_ptr 1
		.amdhsa_user_sgpr_dispatch_id 0
		.amdhsa_user_sgpr_private_segment_size 0
		.amdhsa_wavefront_size32 1
		.amdhsa_uses_dynamic_stack 0
		.amdhsa_enable_private_segment 0
		.amdhsa_system_sgpr_workgroup_id_x 1
		.amdhsa_system_sgpr_workgroup_id_y 1
		.amdhsa_system_sgpr_workgroup_id_z 1
		.amdhsa_system_sgpr_workgroup_info 0
		.amdhsa_system_vgpr_workitem_id 0
		.amdhsa_next_free_vgpr 19
		.amdhsa_next_free_sgpr 32
		.amdhsa_reserve_vcc 1
		.amdhsa_float_round_mode_32 0
		.amdhsa_float_round_mode_16_64 0
		.amdhsa_float_denorm_mode_32 3
		.amdhsa_float_denorm_mode_16_64 3
		.amdhsa_dx10_clamp 1
		.amdhsa_ieee_mode 1
		.amdhsa_fp16_overflow 0
		.amdhsa_workgroup_processor_mode 1
		.amdhsa_memory_ordered 1
		.amdhsa_forward_progress 0
		.amdhsa_shared_vgpr_count 0
		.amdhsa_exception_fp_ieee_invalid_op 0
		.amdhsa_exception_fp_denorm_src 0
		.amdhsa_exception_fp_ieee_div_zero 0
		.amdhsa_exception_fp_ieee_overflow 0
		.amdhsa_exception_fp_ieee_underflow 0
		.amdhsa_exception_fp_ieee_inexact 0
		.amdhsa_exception_int_div_zero 0
	.end_amdhsa_kernel
	.section	.text._ZL33flash_attn_stream_k_fixup_generalILi256ELi64ELi1EEvPfPK15HIP_vector_typeIfLj2EEiiiiS1_IjLj3EES5_S5_S5_,"axG",@progbits,_ZL33flash_attn_stream_k_fixup_generalILi256ELi64ELi1EEvPfPK15HIP_vector_typeIfLj2EEiiiiS1_IjLj3EES5_S5_S5_,comdat
.Lfunc_end32:
	.size	_ZL33flash_attn_stream_k_fixup_generalILi256ELi64ELi1EEvPfPK15HIP_vector_typeIfLj2EEiiiiS1_IjLj3EES5_S5_S5_, .Lfunc_end32-_ZL33flash_attn_stream_k_fixup_generalILi256ELi64ELi1EEvPfPK15HIP_vector_typeIfLj2EEiiiiS1_IjLj3EES5_S5_S5_
                                        ; -- End function
	.section	.AMDGPU.csdata,"",@progbits
; Kernel info:
; codeLenInByte = 3220
; NumSgprs: 34
; NumVgprs: 19
; ScratchSize: 0
; MemoryBound: 0
; FloatMode: 240
; IeeeMode: 1
; LDSByteSize: 0 bytes/workgroup (compile time only)
; SGPRBlocks: 4
; VGPRBlocks: 2
; NumSGPRsForWavesPerEU: 34
; NumVGPRsForWavesPerEU: 19
; Occupancy: 16
; WaveLimiterHint : 0
; COMPUTE_PGM_RSRC2:SCRATCH_EN: 0
; COMPUTE_PGM_RSRC2:USER_SGPR: 13
; COMPUTE_PGM_RSRC2:TRAP_HANDLER: 0
; COMPUTE_PGM_RSRC2:TGID_X_EN: 1
; COMPUTE_PGM_RSRC2:TGID_Y_EN: 1
; COMPUTE_PGM_RSRC2:TGID_Z_EN: 1
; COMPUTE_PGM_RSRC2:TIDIG_COMP_CNT: 0
	.section	.text._ZL26flash_attn_combine_resultsILi256EEvPKfPK15HIP_vector_typeIfLj2EEPfi,"axG",@progbits,_ZL26flash_attn_combine_resultsILi256EEvPKfPK15HIP_vector_typeIfLj2EEPfi,comdat
	.globl	_ZL26flash_attn_combine_resultsILi256EEvPKfPK15HIP_vector_typeIfLj2EEPfi ; -- Begin function _ZL26flash_attn_combine_resultsILi256EEvPKfPK15HIP_vector_typeIfLj2EEPfi
	.p2align	8
	.type	_ZL26flash_attn_combine_resultsILi256EEvPKfPK15HIP_vector_typeIfLj2EEPfi,@function
_ZL26flash_attn_combine_resultsILi256EEvPKfPK15HIP_vector_typeIfLj2EEPfi: ; @_ZL26flash_attn_combine_resultsILi256EEvPKfPK15HIP_vector_typeIfLj2EEPfi
; %bb.0:
	s_clause 0x3
	s_load_b64 s[2:3], s[0:1], 0x20
	s_load_b32 s11, s[0:1], 0x18
	s_load_b128 s[4:7], s[0:1], 0x0
	s_load_b64 s[8:9], s[0:1], 0x10
	v_lshlrev_b32_e32 v5, 2, v0
	s_mov_b32 s12, exec_lo
	s_waitcnt lgkmcnt(0)
	s_mul_i32 s0, s2, s15
	s_lshl_b32 s1, s11, 1
	s_add_i32 s0, s0, s13
	s_delay_alu instid0(SALU_CYCLE_1) | instskip(NEXT) | instid1(SALU_CYCLE_1)
	s_mul_i32 s10, s0, s3
	s_add_i32 s10, s10, s14
	s_delay_alu instid0(SALU_CYCLE_1)
	s_mul_i32 s2, s10, s11
	v_cmpx_gt_i32_e64 s1, v0
	s_cbranch_execz .LBB33_3
; %bb.1:
	s_ashr_i32 s3, s2, 31
	v_dual_mov_b32 v4, v0 :: v_dual_add_nc_u32 v3, 0, v5
	s_lshl_b64 s[14:15], s[2:3], 3
	s_delay_alu instid0(SALU_CYCLE_1) | instskip(SKIP_2) | instid1(VALU_DEP_1)
	s_add_u32 s0, s6, s14
	s_addc_u32 s3, s7, s15
	v_add_co_u32 v1, s0, s0, v5
	v_add_co_ci_u32_e64 v2, null, s3, 0, s0
	s_mov_b32 s3, 0
	.p2align	6
.LBB33_2:                               ; =>This Inner Loop Header: Depth=1
	global_load_b32 v6, v[1:2], off
	v_add_nc_u32_e32 v4, 0x100, v4
	v_add_co_u32 v1, vcc_lo, 0x400, v1
	v_add_co_ci_u32_e32 v2, vcc_lo, 0, v2, vcc_lo
	s_delay_alu instid0(VALU_DEP_3) | instskip(NEXT) | instid1(VALU_DEP_1)
	v_cmp_le_i32_e64 s0, s1, v4
	s_or_b32 s3, s0, s3
	s_waitcnt vmcnt(0)
	ds_store_b32 v3, v6
	v_add_nc_u32_e32 v3, 0x400, v3
	s_and_not1_b32 exec_lo, exec_lo, s3
	s_cbranch_execnz .LBB33_2
.LBB33_3:
	s_or_b32 exec_lo, exec_lo, s12
	v_mov_b32_e32 v1, 0
	s_waitcnt lgkmcnt(0)
	s_barrier
	buffer_gl0_inv
	s_cmp_lt_i32 s11, 2
	ds_load_b32 v6, v1
	s_cbranch_scc1 .LBB33_11
; %bb.4:
	s_add_i32 s1, s11, -2
	s_add_i32 s0, s11, -1
	s_cmp_lt_u32 s1, 7
	s_cbranch_scc1 .LBB33_8
; %bb.5:
	s_mov_b32 s3, 0
	s_add_i32 s1, 0, 8
	s_and_b32 s6, s0, -8
	.p2align	6
.LBB33_6:                               ; =>This Inner Loop Header: Depth=1
	v_mov_b32_e32 v9, s1
	s_mov_b32 s7, s3
	s_add_i32 s3, s3, 8
	s_add_i32 s1, s1, 64
	s_cmp_eq_u32 s6, s3
	ds_load_2addr_b32 v[1:2], v9 offset1:2
	ds_load_2addr_b32 v[3:4], v9 offset0:4 offset1:6
	ds_load_2addr_b32 v[7:8], v9 offset0:8 offset1:10
	;; [unrolled: 1-line block ×3, first 2 shown]
	s_waitcnt lgkmcnt(3)
	v_max3_f32 v1, v6, v1, v2
	s_waitcnt lgkmcnt(2)
	s_delay_alu instid0(VALU_DEP_1) | instskip(SKIP_1) | instid1(VALU_DEP_1)
	v_max3_f32 v1, v1, v3, v4
	s_waitcnt lgkmcnt(1)
	v_max3_f32 v1, v1, v7, v8
	s_waitcnt lgkmcnt(0)
	s_delay_alu instid0(VALU_DEP_1)
	v_max3_f32 v6, v1, v9, v10
	s_cbranch_scc0 .LBB33_6
; %bb.7:
	s_add_i32 s1, s7, 9
	s_and_b32 s0, s0, 7
	s_delay_alu instid0(SALU_CYCLE_1)
	s_cmp_eq_u32 s0, 0
	s_cbranch_scc0 .LBB33_9
	s_branch .LBB33_11
.LBB33_8:
	s_mov_b32 s1, 1
	s_and_b32 s0, s0, 7
	s_delay_alu instid0(SALU_CYCLE_1)
	s_cmp_eq_u32 s0, 0
	s_cbranch_scc1 .LBB33_11
.LBB33_9:
	s_lshl_b32 s1, s1, 3
	s_delay_alu instid0(SALU_CYCLE_1)
	s_add_i32 s1, s1, 0
.LBB33_10:                              ; =>This Inner Loop Header: Depth=1
	s_waitcnt lgkmcnt(0)
	s_delay_alu instid0(VALU_DEP_1)
	v_dual_mov_b32 v1, s1 :: v_dual_max_f32 v2, v6, v6
	s_add_i32 s0, s0, -1
	s_add_i32 s1, s1, 8
	s_cmp_lg_u32 s0, 0
	ds_load_b32 v1, v1
	s_waitcnt lgkmcnt(0)
	v_max_f32_e32 v1, v1, v1
	s_delay_alu instid0(VALU_DEP_1)
	v_max_f32_e32 v6, v2, v1
	s_cbranch_scc1 .LBB33_10
.LBB33_11:
	s_cmp_lt_i32 s11, 1
	s_cbranch_scc1 .LBB33_16
; %bb.12:
	s_lshl_b32 s0, s2, 8
	v_mov_b32_e32 v7, 0
	s_ashr_i32 s1, s0, 31
	s_mov_b32 s13, 0
	s_lshl_b64 s[0:1], s[0:1], 2
	s_delay_alu instid0(SALU_CYCLE_1)
	s_add_u32 s6, s4, s0
	s_addc_u32 s7, s5, s1
	s_cmp_lt_u32 s11, 8
	s_cbranch_scc1 .LBB33_17
; %bb.13:
	v_or_b32_e32 v1, 0x700, v0
	v_dual_mov_b32 v4, 0 :: v_dual_mov_b32 v7, 0
	v_mov_b32_e32 v8, 0
	s_and_b32 s12, s11, 0x7ffffff8
	s_mov_b32 s14, 0
.LBB33_14:                              ; =>This Inner Loop Header: Depth=1
	s_delay_alu instid0(VALU_DEP_2) | instskip(SKIP_3) | instid1(VALU_DEP_2)
	v_dual_mov_b32 v2, v4 :: v_dual_add_nc_u32 v3, 0xfffff900, v1
	v_mov_b32_e32 v21, s13
	s_add_i32 s14, s14, 8
	s_add_i32 s13, s13, 64
	v_lshlrev_b64 v[9:10], 2, v[3:4]
	v_add_nc_u32_e32 v3, 0xfffffa00, v1
	v_lshlrev_b64 v[11:12], 2, v[1:2]
	s_cmp_eq_u32 s12, s14
	s_delay_alu instid0(VALU_DEP_2) | instskip(NEXT) | instid1(VALU_DEP_4)
	v_lshlrev_b64 v[13:14], 2, v[3:4]
	v_add_co_u32 v9, vcc_lo, s6, v9
	v_add_co_ci_u32_e32 v10, vcc_lo, s7, v10, vcc_lo
	v_add_nc_u32_e32 v3, 0xfffffb00, v1
	s_delay_alu instid0(VALU_DEP_4)
	v_add_co_u32 v13, vcc_lo, s6, v13
	global_load_b32 v25, v[9:10], off
	v_add_co_ci_u32_e32 v14, vcc_lo, s7, v14, vcc_lo
	v_lshlrev_b64 v[15:16], 2, v[3:4]
	v_add_nc_u32_e32 v3, 0xfffffc00, v1
	global_load_b32 v26, v[13:14], off
	v_add_co_u32 v13, vcc_lo, s6, v15
	v_add_co_ci_u32_e32 v14, vcc_lo, s7, v16, vcc_lo
	v_lshlrev_b64 v[9:10], 2, v[3:4]
	v_add_nc_u32_e32 v3, 0xfffffd00, v1
	global_load_b32 v27, v[13:14], off
	v_add_co_u32 v9, vcc_lo, s6, v9
	v_lshlrev_b64 v[15:16], 2, v[3:4]
	v_add_nc_u32_e32 v3, 0xfffffe00, v1
	v_add_co_ci_u32_e32 v10, vcc_lo, s7, v10, vcc_lo
	global_load_b32 v28, v[9:10], off
	v_lshlrev_b64 v[13:14], 2, v[3:4]
	v_add_nc_u32_e32 v3, 0xffffff00, v1
	v_add_co_u32 v9, vcc_lo, s6, v15
	v_add_co_ci_u32_e32 v10, vcc_lo, s7, v16, vcc_lo
	s_delay_alu instid0(VALU_DEP_4) | instskip(NEXT) | instid1(VALU_DEP_4)
	v_add_co_u32 v13, vcc_lo, s6, v13
	v_lshlrev_b64 v[2:3], 2, v[3:4]
	v_add_co_ci_u32_e32 v14, vcc_lo, s7, v14, vcc_lo
	s_clause 0x1
	global_load_b32 v29, v[9:10], off
	global_load_b32 v30, v[13:14], off
	v_add_co_u32 v2, vcc_lo, s6, v2
	v_add_co_ci_u32_e32 v3, vcc_lo, s7, v3, vcc_lo
	v_add_co_u32 v9, vcc_lo, s6, v11
	v_add_co_ci_u32_e32 v10, vcc_lo, s7, v12, vcc_lo
	s_clause 0x1
	global_load_b32 v2, v[2:3], off
	global_load_b32 v3, v[9:10], off
	ds_load_2addr_b64 v[9:12], v21 offset1:1
	ds_load_2addr_b64 v[13:16], v21 offset0:2 offset1:3
	ds_load_2addr_b64 v[17:20], v21 offset0:4 offset1:5
	;; [unrolled: 1-line block ×3, first 2 shown]
	v_add_nc_u32_e32 v1, 0x800, v1
	s_waitcnt lgkmcnt(1)
	v_sub_f32_e32 v19, v19, v6
	v_sub_f32_e32 v11, v11, v6
	s_waitcnt lgkmcnt(0)
	v_sub_f32_e32 v23, v23, v6
	s_delay_alu instid0(VALU_DEP_3) | instskip(NEXT) | instid1(VALU_DEP_3)
	v_dual_sub_f32 v13, v13, v6 :: v_dual_mul_f32 v36, 0x3fb8aa3b, v19
	v_mul_f32_e32 v32, 0x3fb8aa3b, v11
	s_delay_alu instid0(VALU_DEP_2) | instskip(SKIP_1) | instid1(VALU_DEP_4)
	v_dual_mul_f32 v38, 0x3fb8aa3b, v23 :: v_dual_mul_f32 v33, 0x3fb8aa3b, v13
	v_cmp_ngt_f32_e32 vcc_lo, 0xc2ce8ed0, v13
	v_fma_f32 v49, 0x3fb8aa3b, v19, -v36
	s_delay_alu instid0(VALU_DEP_4) | instskip(SKIP_4) | instid1(VALU_DEP_4)
	v_fma_f32 v41, 0x3fb8aa3b, v11, -v32
	v_rndne_f32_e32 v42, v32
	v_fma_f32 v43, 0x3fb8aa3b, v13, -v33
	v_rndne_f32_e32 v44, v33
	v_rndne_f32_e32 v50, v36
	v_dual_fmac_f32 v41, 0x32a5705f, v11 :: v_dual_sub_f32 v32, v32, v42
	v_sub_f32_e32 v15, v15, v6
	v_fmac_f32_e32 v43, 0x32a5705f, v13
	v_sub_f32_e32 v33, v33, v44
	v_cvt_i32_f32_e32 v42, v42
	v_dual_add_f32 v32, v32, v41 :: v_dual_sub_f32 v9, v9, v6
	v_mul_f32_e32 v34, 0x3fb8aa3b, v15
	s_delay_alu instid0(VALU_DEP_4) | instskip(SKIP_1) | instid1(VALU_DEP_4)
	v_add_f32_e32 v33, v33, v43
	v_cvt_i32_f32_e32 v44, v44
	v_exp_f32_e32 v32, v32
	v_mul_f32_e32 v31, 0x3fb8aa3b, v9
	v_fma_f32 v45, 0x3fb8aa3b, v15, -v34
	v_rndne_f32_e32 v46, v34
	v_exp_f32_e32 v33, v33
	v_cmp_ngt_f32_e64 s5, 0xc2ce8ed0, v9
	v_fma_f32 v39, 0x3fb8aa3b, v9, -v31
	v_rndne_f32_e32 v40, v31
	v_dual_fmac_f32 v45, 0x32a5705f, v15 :: v_dual_sub_f32 v34, v34, v46
	v_sub_f32_e32 v17, v17, v6
	s_delay_alu instid0(VALU_DEP_4) | instskip(NEXT) | instid1(VALU_DEP_4)
	v_fmac_f32_e32 v39, 0x32a5705f, v9
	v_sub_f32_e32 v31, v31, v40
	v_cvt_i32_f32_e32 v40, v40
	v_add_f32_e32 v34, v34, v45
	v_ldexp_f32 v32, v32, v42
	v_ldexp_f32 v33, v33, v44
	v_add_f32_e32 v31, v31, v39
	v_cvt_i32_f32_e32 v46, v46
	v_exp_f32_e32 v34, v34
	v_cmp_ngt_f32_e64 s0, 0xc2ce8ed0, v15
	v_fmac_f32_e32 v49, 0x32a5705f, v19
	v_exp_f32_e32 v31, v31
	v_sub_f32_e32 v36, v36, v50
	v_cvt_i32_f32_e32 v50, v50
	v_cmp_ngt_f32_e64 s1, 0xc2ce8ed0, v17
	v_rndne_f32_e32 v54, v38
	s_delay_alu instid0(VALU_DEP_4) | instskip(NEXT) | instid1(TRANS32_DEP_2)
	v_add_f32_e32 v36, v36, v49
	v_ldexp_f32 v34, v34, v46
	v_cmp_ngt_f32_e64 s2, 0xc2ce8ed0, v19
	s_delay_alu instid0(TRANS32_DEP_1) | instskip(NEXT) | instid1(VALU_DEP_4)
	v_ldexp_f32 v31, v31, v40
	v_exp_f32_e32 v36, v36
	s_delay_alu instid0(VALU_DEP_1) | instskip(SKIP_1) | instid1(VALU_DEP_1)
	v_cndmask_b32_e64 v31, 0, v31, s5
	v_cmp_ngt_f32_e64 s5, 0xc2ce8ed0, v11
	v_cndmask_b32_e64 v32, 0, v32, s5
	v_cmp_nlt_f32_e64 s5, 0x42b17218, v9
	s_waitcnt_depctr 0xfff
	v_ldexp_f32 v36, v36, v50
	v_cndmask_b32_e64 v9, 0x7f800000, v31, s5
	v_cndmask_b32_e32 v31, 0, v33, vcc_lo
	v_cmp_nlt_f32_e32 vcc_lo, 0x42b17218, v11
	s_delay_alu instid0(VALU_DEP_3) | instskip(SKIP_1) | instid1(VALU_DEP_2)
	v_dual_fmac_f32 v8, v9, v10 :: v_dual_cndmask_b32 v11, 0x7f800000, v32
	v_cmp_nlt_f32_e32 vcc_lo, 0x42b17218, v13
	v_fmac_f32_e32 v8, v11, v12
	v_cndmask_b32_e32 v10, 0x7f800000, v31, vcc_lo
	v_cmp_nlt_f32_e32 vcc_lo, 0x42b17218, v15
	v_fma_f32 v53, 0x3fb8aa3b, v23, -v38
	v_sub_f32_e32 v38, v38, v54
	v_cvt_i32_f32_e32 v54, v54
	v_fmac_f32_e32 v8, v10, v14
	v_cmp_ngt_f32_e64 s4, 0xc2ce8ed0, v23
	v_fmac_f32_e32 v53, 0x32a5705f, v23
	s_delay_alu instid0(VALU_DEP_1) | instskip(NEXT) | instid1(VALU_DEP_1)
	v_dual_sub_f32 v21, v21, v6 :: v_dual_add_f32 v38, v38, v53
	v_cmp_ngt_f32_e64 s3, 0xc2ce8ed0, v21
	s_delay_alu instid0(VALU_DEP_2)
	v_exp_f32_e32 v38, v38
	s_waitcnt_depctr 0xfff
	v_ldexp_f32 v38, v38, v54
	s_waitcnt vmcnt(7)
	v_fmac_f32_e32 v7, v25, v9
	v_cndmask_b32_e64 v9, 0, v34, s0
	s_delay_alu instid0(VALU_DEP_1) | instskip(SKIP_1) | instid1(VALU_DEP_3)
	v_cndmask_b32_e32 v9, 0x7f800000, v9, vcc_lo
	s_waitcnt vmcnt(6)
	v_fmac_f32_e32 v7, v26, v11
	v_cmp_nlt_f32_e32 vcc_lo, 0x42b17218, v17
	s_delay_alu instid0(VALU_DEP_3) | instskip(SKIP_1) | instid1(VALU_DEP_3)
	v_dual_fmac_f32 v8, v9, v16 :: v_dual_mul_f32 v35, 0x3fb8aa3b, v17
	s_waitcnt vmcnt(5)
	v_fmac_f32_e32 v7, v27, v10
	s_delay_alu instid0(VALU_DEP_2) | instskip(SKIP_2) | instid1(VALU_DEP_3)
	v_fma_f32 v47, 0x3fb8aa3b, v17, -v35
	v_rndne_f32_e32 v48, v35
	v_cndmask_b32_e64 v10, 0, v36, s2
	v_fmac_f32_e32 v47, 0x32a5705f, v17
	s_delay_alu instid0(VALU_DEP_3) | instskip(SKIP_1) | instid1(VALU_DEP_2)
	v_sub_f32_e32 v35, v35, v48
	v_cvt_i32_f32_e32 v48, v48
	v_add_f32_e32 v35, v35, v47
	s_waitcnt vmcnt(4)
	v_fmac_f32_e32 v7, v28, v9
	s_delay_alu instid0(VALU_DEP_2) | instskip(SKIP_2) | instid1(VALU_DEP_1)
	v_exp_f32_e32 v35, v35
	s_waitcnt_depctr 0xfff
	v_ldexp_f32 v35, v35, v48
	v_cndmask_b32_e64 v11, 0, v35, s1
	s_delay_alu instid0(VALU_DEP_1) | instskip(SKIP_1) | instid1(VALU_DEP_2)
	v_cndmask_b32_e32 v11, 0x7f800000, v11, vcc_lo
	v_cmp_nlt_f32_e32 vcc_lo, 0x42b17218, v19
	v_fmac_f32_e32 v8, v11, v18
	v_cndmask_b32_e32 v10, 0x7f800000, v10, vcc_lo
	v_mul_f32_e32 v37, 0x3fb8aa3b, v21
	s_waitcnt vmcnt(3)
	v_fmac_f32_e32 v7, v29, v11
	v_cmp_nlt_f32_e32 vcc_lo, 0x42b17218, v21
	v_cndmask_b32_e64 v11, 0, v38, s4
	v_fmac_f32_e32 v8, v10, v20
	v_fma_f32 v51, 0x3fb8aa3b, v21, -v37
	v_rndne_f32_e32 v52, v37
	s_waitcnt vmcnt(2)
	v_fmac_f32_e32 v7, v30, v10
	s_delay_alu instid0(VALU_DEP_3) | instskip(NEXT) | instid1(VALU_DEP_3)
	v_fmac_f32_e32 v51, 0x32a5705f, v21
	v_sub_f32_e32 v37, v37, v52
	v_cvt_i32_f32_e32 v52, v52
	s_delay_alu instid0(VALU_DEP_2) | instskip(NEXT) | instid1(VALU_DEP_1)
	v_add_f32_e32 v37, v37, v51
	v_exp_f32_e32 v37, v37
	s_waitcnt_depctr 0xfff
	v_ldexp_f32 v37, v37, v52
	s_delay_alu instid0(VALU_DEP_1) | instskip(NEXT) | instid1(VALU_DEP_1)
	v_cndmask_b32_e64 v9, 0, v37, s3
	v_cndmask_b32_e32 v9, 0x7f800000, v9, vcc_lo
	v_cmp_nlt_f32_e32 vcc_lo, 0x42b17218, v23
	s_delay_alu instid0(VALU_DEP_2) | instskip(SKIP_3) | instid1(VALU_DEP_1)
	v_fmac_f32_e32 v8, v9, v22
	s_waitcnt vmcnt(1)
	v_dual_cndmask_b32 v10, 0x7f800000, v11 :: v_dual_fmac_f32 v7, v2, v9
	s_waitcnt vmcnt(0)
	v_dual_fmac_f32 v8, v10, v24 :: v_dual_fmac_f32 v7, v3, v10
	s_cbranch_scc0 .LBB33_14
; %bb.15:
	s_and_b32 s0, s11, 7
	s_delay_alu instid0(SALU_CYCLE_1)
	s_cmp_eq_u32 s0, 0
	s_cbranch_scc0 .LBB33_18
	s_branch .LBB33_20
.LBB33_16:
	v_mov_b32_e32 v0, 0x7fc00000
	s_branch .LBB33_21
.LBB33_17:
	v_mov_b32_e32 v8, 0
	s_mov_b32 s12, 0
	s_and_b32 s0, s11, 7
	s_delay_alu instid0(SALU_CYCLE_1)
	s_cmp_eq_u32 s0, 0
	s_cbranch_scc1 .LBB33_20
.LBB33_18:
	v_lshl_or_b32 v0, s12, 8, v0
	v_mov_b32_e32 v1, 0
	s_lshl_b32 s1, s12, 3
	s_delay_alu instid0(SALU_CYCLE_1)
	s_add_i32 s1, s1, 0
	s_set_inst_prefetch_distance 0x1
	.p2align	6
.LBB33_19:                              ; =>This Inner Loop Header: Depth=1
	s_delay_alu instid0(VALU_DEP_1) | instskip(SKIP_2) | instid1(VALU_DEP_2)
	v_lshlrev_b64 v[2:3], 2, v[0:1]
	s_add_i32 s0, s0, -1
	v_add_nc_u32_e32 v0, 0x100, v0
	v_add_co_u32 v2, vcc_lo, s6, v2
	s_delay_alu instid0(VALU_DEP_3)
	v_add_co_ci_u32_e32 v3, vcc_lo, s7, v3, vcc_lo
	global_load_b32 v4, v[2:3], off
	v_mov_b32_e32 v2, s1
	s_add_i32 s1, s1, 8
	s_cmp_lg_u32 s0, 0
	ds_load_b64 v[2:3], v2
	s_waitcnt lgkmcnt(0)
	v_sub_f32_e32 v2, v2, v6
	s_delay_alu instid0(VALU_DEP_1) | instskip(SKIP_1) | instid1(VALU_DEP_2)
	v_mul_f32_e32 v9, 0x3fb8aa3b, v2
	v_cmp_ngt_f32_e32 vcc_lo, 0xc2ce8ed0, v2
	v_fma_f32 v10, 0x3fb8aa3b, v2, -v9
	v_rndne_f32_e32 v11, v9
	s_delay_alu instid0(VALU_DEP_1) | instskip(NEXT) | instid1(VALU_DEP_1)
	v_dual_fmac_f32 v10, 0x32a5705f, v2 :: v_dual_sub_f32 v9, v9, v11
	v_add_f32_e32 v9, v9, v10
	v_cvt_i32_f32_e32 v10, v11
	s_delay_alu instid0(VALU_DEP_2) | instskip(SKIP_2) | instid1(VALU_DEP_1)
	v_exp_f32_e32 v9, v9
	s_waitcnt_depctr 0xfff
	v_ldexp_f32 v9, v9, v10
	v_cndmask_b32_e32 v9, 0, v9, vcc_lo
	v_cmp_nlt_f32_e32 vcc_lo, 0x42b17218, v2
	s_delay_alu instid0(VALU_DEP_2) | instskip(SKIP_1) | instid1(VALU_DEP_1)
	v_cndmask_b32_e32 v2, 0x7f800000, v9, vcc_lo
	s_waitcnt vmcnt(0)
	v_dual_fmac_f32 v8, v2, v3 :: v_dual_fmac_f32 v7, v4, v2
	s_cbranch_scc1 .LBB33_19
.LBB33_20:
	s_set_inst_prefetch_distance 0x2
	s_delay_alu instid0(VALU_DEP_1) | instskip(NEXT) | instid1(VALU_DEP_1)
	v_div_scale_f32 v0, null, v8, v8, v7
	v_rcp_f32_e32 v1, v0
	s_waitcnt_depctr 0xfff
	v_fma_f32 v2, -v0, v1, 1.0
	s_delay_alu instid0(VALU_DEP_1) | instskip(SKIP_1) | instid1(VALU_DEP_1)
	v_fmac_f32_e32 v1, v2, v1
	v_div_scale_f32 v2, vcc_lo, v7, v8, v7
	v_mul_f32_e32 v3, v2, v1
	s_delay_alu instid0(VALU_DEP_1) | instskip(NEXT) | instid1(VALU_DEP_1)
	v_fma_f32 v4, -v0, v3, v2
	v_fmac_f32_e32 v3, v4, v1
	s_delay_alu instid0(VALU_DEP_1) | instskip(NEXT) | instid1(VALU_DEP_1)
	v_fma_f32 v0, -v0, v3, v2
	v_div_fmas_f32 v0, v0, v1, v3
	s_delay_alu instid0(VALU_DEP_1)
	v_div_fixup_f32 v0, v0, v8, v7
.LBB33_21:
	s_lshl_b32 s0, s10, 8
	s_delay_alu instid0(SALU_CYCLE_1) | instskip(NEXT) | instid1(SALU_CYCLE_1)
	s_ashr_i32 s1, s0, 31
	s_lshl_b64 s[0:1], s[0:1], 2
	s_delay_alu instid0(SALU_CYCLE_1)
	s_add_u32 s0, s8, s0
	s_addc_u32 s1, s9, s1
	global_store_b32 v5, v0, s[0:1]
	s_nop 0
	s_sendmsg sendmsg(MSG_DEALLOC_VGPRS)
	s_endpgm
	.section	.rodata,"a",@progbits
	.p2align	6, 0x0
	.amdhsa_kernel _ZL26flash_attn_combine_resultsILi256EEvPKfPK15HIP_vector_typeIfLj2EEPfi
		.amdhsa_group_segment_fixed_size 0
		.amdhsa_private_segment_fixed_size 0
		.amdhsa_kernarg_size 288
		.amdhsa_user_sgpr_count 13
		.amdhsa_user_sgpr_dispatch_ptr 0
		.amdhsa_user_sgpr_queue_ptr 0
		.amdhsa_user_sgpr_kernarg_segment_ptr 1
		.amdhsa_user_sgpr_dispatch_id 0
		.amdhsa_user_sgpr_private_segment_size 0
		.amdhsa_wavefront_size32 1
		.amdhsa_uses_dynamic_stack 0
		.amdhsa_enable_private_segment 0
		.amdhsa_system_sgpr_workgroup_id_x 1
		.amdhsa_system_sgpr_workgroup_id_y 1
		.amdhsa_system_sgpr_workgroup_id_z 1
		.amdhsa_system_sgpr_workgroup_info 0
		.amdhsa_system_vgpr_workitem_id 0
		.amdhsa_next_free_vgpr 55
		.amdhsa_next_free_sgpr 16
		.amdhsa_reserve_vcc 1
		.amdhsa_float_round_mode_32 0
		.amdhsa_float_round_mode_16_64 0
		.amdhsa_float_denorm_mode_32 3
		.amdhsa_float_denorm_mode_16_64 3
		.amdhsa_dx10_clamp 1
		.amdhsa_ieee_mode 1
		.amdhsa_fp16_overflow 0
		.amdhsa_workgroup_processor_mode 1
		.amdhsa_memory_ordered 1
		.amdhsa_forward_progress 0
		.amdhsa_shared_vgpr_count 0
		.amdhsa_exception_fp_ieee_invalid_op 0
		.amdhsa_exception_fp_denorm_src 0
		.amdhsa_exception_fp_ieee_div_zero 0
		.amdhsa_exception_fp_ieee_overflow 0
		.amdhsa_exception_fp_ieee_underflow 0
		.amdhsa_exception_fp_ieee_inexact 0
		.amdhsa_exception_int_div_zero 0
	.end_amdhsa_kernel
	.section	.text._ZL26flash_attn_combine_resultsILi256EEvPKfPK15HIP_vector_typeIfLj2EEPfi,"axG",@progbits,_ZL26flash_attn_combine_resultsILi256EEvPKfPK15HIP_vector_typeIfLj2EEPfi,comdat
.Lfunc_end33:
	.size	_ZL26flash_attn_combine_resultsILi256EEvPKfPK15HIP_vector_typeIfLj2EEPfi, .Lfunc_end33-_ZL26flash_attn_combine_resultsILi256EEvPKfPK15HIP_vector_typeIfLj2EEPfi
                                        ; -- End function
	.section	.AMDGPU.csdata,"",@progbits
; Kernel info:
; codeLenInByte = 2352
; NumSgprs: 18
; NumVgprs: 55
; ScratchSize: 0
; MemoryBound: 0
; FloatMode: 240
; IeeeMode: 1
; LDSByteSize: 0 bytes/workgroup (compile time only)
; SGPRBlocks: 2
; VGPRBlocks: 6
; NumSGPRsForWavesPerEU: 18
; NumVGPRsForWavesPerEU: 55
; Occupancy: 16
; WaveLimiterHint : 0
; COMPUTE_PGM_RSRC2:SCRATCH_EN: 0
; COMPUTE_PGM_RSRC2:USER_SGPR: 13
; COMPUTE_PGM_RSRC2:TRAP_HANDLER: 0
; COMPUTE_PGM_RSRC2:TGID_X_EN: 1
; COMPUTE_PGM_RSRC2:TGID_Y_EN: 1
; COMPUTE_PGM_RSRC2:TGID_Z_EN: 1
; COMPUTE_PGM_RSRC2:TIDIG_COMP_CNT: 0
	.text
	.p2alignl 7, 3214868480
	.fill 96, 4, 3214868480
	.type	.str,@object                    ; @.str
	.section	.rodata.str1.1,"aMS",@progbits,1
.str:
	.asciz	"/root/src/amdgpu-assembly/repos/ggml-org__llama.cpp/ggml/src/ggml-cuda/template-instances/../fattn-mma-f16.cuh"
	.size	.str, 111

	.type	__FUNCTION__._ZL18flash_attn_ext_f16ILi64ELi64ELi64ELi1ELb0ELb0EEvPKcS1_S1_S1_S1_PKiPfP15HIP_vector_typeIfLj2EEffffjfiS5_IjLj3EEiiiiiiiiiiiliiliiiiil,@object ; @__FUNCTION__._ZL18flash_attn_ext_f16ILi64ELi64ELi64ELi1ELb0ELb0EEvPKcS1_S1_S1_S1_PKiPfP15HIP_vector_typeIfLj2EEffffjfiS5_IjLj3EEiiiiiiiiiiiliiliiiiil
__FUNCTION__._ZL18flash_attn_ext_f16ILi64ELi64ELi64ELi1ELb0ELb0EEvPKcS1_S1_S1_S1_PKiPfP15HIP_vector_typeIfLj2EEffffjfiS5_IjLj3EEiiiiiiiiiiiliiliiiiil:
	.asciz	"flash_attn_ext_f16"
	.size	__FUNCTION__._ZL18flash_attn_ext_f16ILi64ELi64ELi64ELi1ELb0ELb0EEvPKcS1_S1_S1_S1_PKiPfP15HIP_vector_typeIfLj2EEffffjfiS5_IjLj3EEiiiiiiiiiiiliiliiiiil, 19

	.type	.str.2,@object                  ; @.str.2
.str.2:
	.asciz	"%s:%d: ERROR: HIP kernel %s has no device code compatible with HIP arch %d.\n"
	.size	.str.2, 77

	.type	__hip_cuid_8c28859574574232,@object ; @__hip_cuid_8c28859574574232
	.section	.bss,"aw",@nobits
	.globl	__hip_cuid_8c28859574574232
__hip_cuid_8c28859574574232:
	.byte	0                               ; 0x0
	.size	__hip_cuid_8c28859574574232, 1

	.ident	"AMD clang version 19.0.0git (https://github.com/RadeonOpenCompute/llvm-project roc-6.4.0 25133 c7fe45cf4b819c5991fe208aaa96edf142730f1d)"
	.section	".note.GNU-stack","",@progbits
	.addrsig
	.addrsig_sym __hip_cuid_8c28859574574232
	.amdgpu_metadata
---
amdhsa.kernels:
  - .args:
      - .address_space:  global
        .offset:         0
        .size:           8
        .value_kind:     global_buffer
      - .address_space:  global
        .offset:         8
        .size:           8
        .value_kind:     global_buffer
      - .address_space:  global
        .offset:         16
        .size:           8
        .value_kind:     global_buffer
      - .address_space:  global
        .offset:         24
        .size:           8
        .value_kind:     global_buffer
      - .address_space:  global
        .offset:         32
        .size:           8
        .value_kind:     global_buffer
      - .address_space:  global
        .offset:         40
        .size:           8
        .value_kind:     global_buffer
      - .address_space:  global
        .offset:         48
        .size:           8
        .value_kind:     global_buffer
      - .address_space:  global
        .offset:         56
        .size:           8
        .value_kind:     global_buffer
      - .offset:         64
        .size:           4
        .value_kind:     by_value
      - .offset:         68
        .size:           4
        .value_kind:     by_value
      - .offset:         72
        .size:           4
        .value_kind:     by_value
      - .offset:         76
        .size:           4
        .value_kind:     by_value
      - .offset:         80
        .size:           4
        .value_kind:     by_value
      - .offset:         84
        .size:           4
        .value_kind:     by_value
      - .offset:         88
        .size:           4
        .value_kind:     by_value
      - .offset:         92
        .size:           12
        .value_kind:     by_value
      - .offset:         104
        .size:           4
        .value_kind:     by_value
      - .offset:         108
        .size:           4
        .value_kind:     by_value
      - .offset:         112
        .size:           4
        .value_kind:     by_value
      - .offset:         116
        .size:           4
        .value_kind:     by_value
      - .offset:         120
        .size:           4
        .value_kind:     by_value
      - .offset:         124
        .size:           4
        .value_kind:     by_value
      - .offset:         128
        .size:           4
        .value_kind:     by_value
      - .offset:         132
        .size:           4
        .value_kind:     by_value
      - .offset:         136
        .size:           4
        .value_kind:     by_value
      - .offset:         140
        .size:           4
        .value_kind:     by_value
      - .offset:         144
        .size:           4
        .value_kind:     by_value
      - .offset:         152
        .size:           8
        .value_kind:     by_value
      - .offset:         160
        .size:           4
        .value_kind:     by_value
      - .offset:         164
        .size:           4
        .value_kind:     by_value
      - .offset:         168
        .size:           8
        .value_kind:     by_value
      - .offset:         176
        .size:           4
        .value_kind:     by_value
      - .offset:         180
        .size:           4
        .value_kind:     by_value
      - .offset:         184
        .size:           4
        .value_kind:     by_value
      - .offset:         188
        .size:           4
        .value_kind:     by_value
      - .offset:         192
        .size:           4
        .value_kind:     by_value
      - .offset:         200
        .size:           8
        .value_kind:     by_value
      - .offset:         208
        .size:           4
        .value_kind:     hidden_block_count_x
      - .offset:         212
        .size:           4
        .value_kind:     hidden_block_count_y
      - .offset:         216
        .size:           4
        .value_kind:     hidden_block_count_z
      - .offset:         220
        .size:           2
        .value_kind:     hidden_group_size_x
      - .offset:         222
        .size:           2
        .value_kind:     hidden_group_size_y
      - .offset:         224
        .size:           2
        .value_kind:     hidden_group_size_z
      - .offset:         226
        .size:           2
        .value_kind:     hidden_remainder_x
      - .offset:         228
        .size:           2
        .value_kind:     hidden_remainder_y
      - .offset:         230
        .size:           2
        .value_kind:     hidden_remainder_z
      - .offset:         248
        .size:           8
        .value_kind:     hidden_global_offset_x
      - .offset:         256
        .size:           8
        .value_kind:     hidden_global_offset_y
      - .offset:         264
        .size:           8
        .value_kind:     hidden_global_offset_z
      - .offset:         272
        .size:           2
        .value_kind:     hidden_grid_dims
      - .offset:         288
        .size:           8
        .value_kind:     hidden_hostcall_buffer
    .group_segment_fixed_size: 0
    .kernarg_segment_align: 8
    .kernarg_segment_size: 464
    .language:       OpenCL C
    .language_version:
      - 2
      - 0
    .max_flat_workgroup_size: 128
    .name:           _ZL18flash_attn_ext_f16ILi64ELi64ELi64ELi1ELb0ELb0EEvPKcS1_S1_S1_S1_PKiPfP15HIP_vector_typeIfLj2EEffffjfiS5_IjLj3EEiiiiiiiiiiiliiliiiiil
    .private_segment_fixed_size: 16
    .sgpr_count:     36
    .sgpr_spill_count: 0
    .symbol:         _ZL18flash_attn_ext_f16ILi64ELi64ELi64ELi1ELb0ELb0EEvPKcS1_S1_S1_S1_PKiPfP15HIP_vector_typeIfLj2EEffffjfiS5_IjLj3EEiiiiiiiiiiiliiliiiiil.kd
    .uniform_work_group_size: 1
    .uses_dynamic_stack: false
    .vgpr_count:     37
    .vgpr_spill_count: 0
    .wavefront_size: 32
    .workgroup_processor_mode: 1
  - .args:
      - .address_space:  global
        .offset:         0
        .size:           8
        .value_kind:     global_buffer
      - .address_space:  global
        .offset:         8
        .size:           8
        .value_kind:     global_buffer
      - .address_space:  global
        .offset:         16
        .size:           8
        .value_kind:     global_buffer
      - .address_space:  global
        .offset:         24
        .size:           8
        .value_kind:     global_buffer
      - .address_space:  global
        .offset:         32
        .size:           8
        .value_kind:     global_buffer
      - .address_space:  global
        .offset:         40
        .size:           8
        .value_kind:     global_buffer
      - .address_space:  global
        .offset:         48
        .size:           8
        .value_kind:     global_buffer
      - .address_space:  global
        .offset:         56
        .size:           8
        .value_kind:     global_buffer
      - .offset:         64
        .size:           4
        .value_kind:     by_value
      - .offset:         68
        .size:           4
        .value_kind:     by_value
      - .offset:         72
        .size:           4
        .value_kind:     by_value
      - .offset:         76
        .size:           4
        .value_kind:     by_value
      - .offset:         80
        .size:           4
        .value_kind:     by_value
      - .offset:         84
        .size:           4
        .value_kind:     by_value
      - .offset:         88
        .size:           4
        .value_kind:     by_value
      - .offset:         92
        .size:           12
        .value_kind:     by_value
      - .offset:         104
        .size:           4
        .value_kind:     by_value
      - .offset:         108
        .size:           4
        .value_kind:     by_value
      - .offset:         112
        .size:           4
        .value_kind:     by_value
      - .offset:         116
        .size:           4
        .value_kind:     by_value
      - .offset:         120
        .size:           4
        .value_kind:     by_value
      - .offset:         124
        .size:           4
        .value_kind:     by_value
      - .offset:         128
        .size:           4
        .value_kind:     by_value
      - .offset:         132
        .size:           4
        .value_kind:     by_value
      - .offset:         136
        .size:           4
        .value_kind:     by_value
      - .offset:         140
        .size:           4
        .value_kind:     by_value
      - .offset:         144
        .size:           4
        .value_kind:     by_value
      - .offset:         152
        .size:           8
        .value_kind:     by_value
      - .offset:         160
        .size:           4
        .value_kind:     by_value
      - .offset:         164
        .size:           4
        .value_kind:     by_value
      - .offset:         168
        .size:           8
        .value_kind:     by_value
      - .offset:         176
        .size:           4
        .value_kind:     by_value
      - .offset:         180
        .size:           4
        .value_kind:     by_value
      - .offset:         184
        .size:           4
        .value_kind:     by_value
      - .offset:         188
        .size:           4
        .value_kind:     by_value
      - .offset:         192
        .size:           4
        .value_kind:     by_value
      - .offset:         200
        .size:           8
        .value_kind:     by_value
      - .offset:         208
        .size:           4
        .value_kind:     hidden_block_count_x
      - .offset:         212
        .size:           4
        .value_kind:     hidden_block_count_y
      - .offset:         216
        .size:           4
        .value_kind:     hidden_block_count_z
      - .offset:         220
        .size:           2
        .value_kind:     hidden_group_size_x
      - .offset:         222
        .size:           2
        .value_kind:     hidden_group_size_y
      - .offset:         224
        .size:           2
        .value_kind:     hidden_group_size_z
      - .offset:         226
        .size:           2
        .value_kind:     hidden_remainder_x
      - .offset:         228
        .size:           2
        .value_kind:     hidden_remainder_y
      - .offset:         230
        .size:           2
        .value_kind:     hidden_remainder_z
      - .offset:         248
        .size:           8
        .value_kind:     hidden_global_offset_x
      - .offset:         256
        .size:           8
        .value_kind:     hidden_global_offset_y
      - .offset:         264
        .size:           8
        .value_kind:     hidden_global_offset_z
      - .offset:         272
        .size:           2
        .value_kind:     hidden_grid_dims
      - .offset:         288
        .size:           8
        .value_kind:     hidden_hostcall_buffer
    .group_segment_fixed_size: 0
    .kernarg_segment_align: 8
    .kernarg_segment_size: 464
    .language:       OpenCL C
    .language_version:
      - 2
      - 0
    .max_flat_workgroup_size: 128
    .name:           _ZL18flash_attn_ext_f16ILi64ELi64ELi64ELi1ELb1ELb0EEvPKcS1_S1_S1_S1_PKiPfP15HIP_vector_typeIfLj2EEffffjfiS5_IjLj3EEiiiiiiiiiiiliiliiiiil
    .private_segment_fixed_size: 16
    .sgpr_count:     36
    .sgpr_spill_count: 0
    .symbol:         _ZL18flash_attn_ext_f16ILi64ELi64ELi64ELi1ELb1ELb0EEvPKcS1_S1_S1_S1_PKiPfP15HIP_vector_typeIfLj2EEffffjfiS5_IjLj3EEiiiiiiiiiiiliiliiiiil.kd
    .uniform_work_group_size: 1
    .uses_dynamic_stack: false
    .vgpr_count:     37
    .vgpr_spill_count: 0
    .wavefront_size: 32
    .workgroup_processor_mode: 1
  - .args:
      - .actual_access:  read_only
        .address_space:  global
        .offset:         0
        .size:           8
        .value_kind:     global_buffer
      - .actual_access:  write_only
        .address_space:  global
        .offset:         8
        .size:           8
        .value_kind:     global_buffer
      - .offset:         16
        .size:           4
        .value_kind:     by_value
      - .offset:         20
        .size:           4
        .value_kind:     by_value
      - .offset:         24
        .size:           4
        .value_kind:     by_value
      - .offset:         32
        .size:           4
        .value_kind:     hidden_block_count_x
      - .offset:         36
        .size:           4
        .value_kind:     hidden_block_count_y
      - .offset:         40
        .size:           4
        .value_kind:     hidden_block_count_z
      - .offset:         44
        .size:           2
        .value_kind:     hidden_group_size_x
      - .offset:         46
        .size:           2
        .value_kind:     hidden_group_size_y
      - .offset:         48
        .size:           2
        .value_kind:     hidden_group_size_z
      - .offset:         50
        .size:           2
        .value_kind:     hidden_remainder_x
      - .offset:         52
        .size:           2
        .value_kind:     hidden_remainder_y
      - .offset:         54
        .size:           2
        .value_kind:     hidden_remainder_z
      - .offset:         72
        .size:           8
        .value_kind:     hidden_global_offset_x
      - .offset:         80
        .size:           8
        .value_kind:     hidden_global_offset_y
      - .offset:         88
        .size:           8
        .value_kind:     hidden_global_offset_z
      - .offset:         96
        .size:           2
        .value_kind:     hidden_grid_dims
    .group_segment_fixed_size: 128
    .kernarg_segment_align: 8
    .kernarg_segment_size: 288
    .language:       OpenCL C
    .language_version:
      - 2
      - 0
    .max_flat_workgroup_size: 128
    .name:           _ZL25flash_attn_mask_to_KV_maxILi64EEvPK7__half2Piiii
    .private_segment_fixed_size: 0
    .sgpr_count:     107
    .sgpr_spill_count: 33
    .symbol:         _ZL25flash_attn_mask_to_KV_maxILi64EEvPK7__half2Piiii.kd
    .uniform_work_group_size: 1
    .uses_dynamic_stack: false
    .vgpr_count:     11
    .vgpr_spill_count: 0
    .wavefront_size: 32
    .workgroup_processor_mode: 1
  - .args:
      - .address_space:  global
        .offset:         0
        .size:           8
        .value_kind:     global_buffer
      - .address_space:  global
        .offset:         8
        .size:           8
        .value_kind:     global_buffer
      - .offset:         16
        .size:           4
        .value_kind:     by_value
      - .offset:         20
        .size:           4
        .value_kind:     by_value
      - .offset:         24
        .size:           4
        .value_kind:     by_value
      - .offset:         28
        .size:           4
        .value_kind:     by_value
      - .offset:         32
        .size:           4
        .value_kind:     by_value
      - .offset:         36
        .size:           4
        .value_kind:     by_value
      - .offset:         40
        .size:           12
        .value_kind:     by_value
      - .offset:         52
        .size:           12
        .value_kind:     by_value
      - .offset:         64
        .size:           12
        .value_kind:     by_value
    .group_segment_fixed_size: 0
    .kernarg_segment_align: 8
    .kernarg_segment_size: 76
    .language:       OpenCL C
    .language_version:
      - 2
      - 0
    .max_flat_workgroup_size: 64
    .name:           _ZL33flash_attn_stream_k_fixup_uniformILi64ELi64ELi1EEvPfPK15HIP_vector_typeIfLj2EEiiiiiiS1_IjLj3EES5_S5_
    .private_segment_fixed_size: 0
    .sgpr_count:     22
    .sgpr_spill_count: 0
    .symbol:         _ZL33flash_attn_stream_k_fixup_uniformILi64ELi64ELi1EEvPfPK15HIP_vector_typeIfLj2EEiiiiiiS1_IjLj3EES5_S5_.kd
    .uniform_work_group_size: 1
    .uses_dynamic_stack: false
    .vgpr_count:     15
    .vgpr_spill_count: 0
    .wavefront_size: 32
    .workgroup_processor_mode: 1
  - .args:
      - .address_space:  global
        .offset:         0
        .size:           8
        .value_kind:     global_buffer
      - .address_space:  global
        .offset:         8
        .size:           8
        .value_kind:     global_buffer
      - .offset:         16
        .size:           4
        .value_kind:     by_value
      - .offset:         20
        .size:           4
        .value_kind:     by_value
      - .offset:         24
        .size:           4
        .value_kind:     by_value
      - .offset:         28
        .size:           4
        .value_kind:     by_value
      - .offset:         32
        .size:           12
        .value_kind:     by_value
      - .offset:         44
        .size:           12
        .value_kind:     by_value
      - .offset:         56
        .size:           12
        .value_kind:     by_value
      - .offset:         68
        .size:           12
        .value_kind:     by_value
      - .offset:         80
        .size:           4
        .value_kind:     hidden_block_count_x
      - .offset:         84
        .size:           4
        .value_kind:     hidden_block_count_y
      - .offset:         88
        .size:           4
        .value_kind:     hidden_block_count_z
      - .offset:         92
        .size:           2
        .value_kind:     hidden_group_size_x
      - .offset:         94
        .size:           2
        .value_kind:     hidden_group_size_y
      - .offset:         96
        .size:           2
        .value_kind:     hidden_group_size_z
      - .offset:         98
        .size:           2
        .value_kind:     hidden_remainder_x
      - .offset:         100
        .size:           2
        .value_kind:     hidden_remainder_y
      - .offset:         102
        .size:           2
        .value_kind:     hidden_remainder_z
      - .offset:         120
        .size:           8
        .value_kind:     hidden_global_offset_x
      - .offset:         128
        .size:           8
        .value_kind:     hidden_global_offset_y
      - .offset:         136
        .size:           8
        .value_kind:     hidden_global_offset_z
      - .offset:         144
        .size:           2
        .value_kind:     hidden_grid_dims
    .group_segment_fixed_size: 0
    .kernarg_segment_align: 8
    .kernarg_segment_size: 336
    .language:       OpenCL C
    .language_version:
      - 2
      - 0
    .max_flat_workgroup_size: 64
    .name:           _ZL33flash_attn_stream_k_fixup_generalILi64ELi64ELi1EEvPfPK15HIP_vector_typeIfLj2EEiiiiS1_IjLj3EES5_S5_S5_
    .private_segment_fixed_size: 0
    .sgpr_count:     34
    .sgpr_spill_count: 0
    .symbol:         _ZL33flash_attn_stream_k_fixup_generalILi64ELi64ELi1EEvPfPK15HIP_vector_typeIfLj2EEiiiiS1_IjLj3EES5_S5_S5_.kd
    .uniform_work_group_size: 1
    .uses_dynamic_stack: false
    .vgpr_count:     19
    .vgpr_spill_count: 0
    .wavefront_size: 32
    .workgroup_processor_mode: 1
  - .args:
      - .address_space:  global
        .offset:         0
        .size:           8
        .value_kind:     global_buffer
      - .address_space:  global
        .offset:         8
        .size:           8
        .value_kind:     global_buffer
      - .address_space:  global
        .offset:         16
        .size:           8
        .value_kind:     global_buffer
      - .offset:         24
        .size:           4
        .value_kind:     by_value
      - .offset:         32
        .size:           4
        .value_kind:     hidden_block_count_x
      - .offset:         36
        .size:           4
        .value_kind:     hidden_block_count_y
      - .offset:         40
        .size:           4
        .value_kind:     hidden_block_count_z
      - .offset:         44
        .size:           2
        .value_kind:     hidden_group_size_x
      - .offset:         46
        .size:           2
        .value_kind:     hidden_group_size_y
      - .offset:         48
        .size:           2
        .value_kind:     hidden_group_size_z
      - .offset:         50
        .size:           2
        .value_kind:     hidden_remainder_x
      - .offset:         52
        .size:           2
        .value_kind:     hidden_remainder_y
      - .offset:         54
        .size:           2
        .value_kind:     hidden_remainder_z
      - .offset:         72
        .size:           8
        .value_kind:     hidden_global_offset_x
      - .offset:         80
        .size:           8
        .value_kind:     hidden_global_offset_y
      - .offset:         88
        .size:           8
        .value_kind:     hidden_global_offset_z
      - .offset:         96
        .size:           2
        .value_kind:     hidden_grid_dims
      - .offset:         152
        .size:           4
        .value_kind:     hidden_dynamic_lds_size
    .group_segment_fixed_size: 0
    .kernarg_segment_align: 8
    .kernarg_segment_size: 288
    .language:       OpenCL C
    .language_version:
      - 2
      - 0
    .max_flat_workgroup_size: 64
    .name:           _ZL26flash_attn_combine_resultsILi64EEvPKfPK15HIP_vector_typeIfLj2EEPfi
    .private_segment_fixed_size: 0
    .sgpr_count:     18
    .sgpr_spill_count: 0
    .symbol:         _ZL26flash_attn_combine_resultsILi64EEvPKfPK15HIP_vector_typeIfLj2EEPfi.kd
    .uniform_work_group_size: 1
    .uses_dynamic_stack: false
    .vgpr_count:     55
    .vgpr_spill_count: 0
    .wavefront_size: 32
    .workgroup_processor_mode: 1
  - .args:
      - .address_space:  global
        .offset:         0
        .size:           8
        .value_kind:     global_buffer
      - .address_space:  global
        .offset:         8
        .size:           8
        .value_kind:     global_buffer
      - .address_space:  global
        .offset:         16
        .size:           8
        .value_kind:     global_buffer
      - .address_space:  global
        .offset:         24
        .size:           8
        .value_kind:     global_buffer
      - .address_space:  global
        .offset:         32
        .size:           8
        .value_kind:     global_buffer
      - .address_space:  global
        .offset:         40
        .size:           8
        .value_kind:     global_buffer
      - .address_space:  global
        .offset:         48
        .size:           8
        .value_kind:     global_buffer
      - .address_space:  global
        .offset:         56
        .size:           8
        .value_kind:     global_buffer
      - .offset:         64
        .size:           4
        .value_kind:     by_value
      - .offset:         68
        .size:           4
        .value_kind:     by_value
      - .offset:         72
        .size:           4
        .value_kind:     by_value
      - .offset:         76
        .size:           4
        .value_kind:     by_value
      - .offset:         80
        .size:           4
        .value_kind:     by_value
      - .offset:         84
        .size:           4
        .value_kind:     by_value
      - .offset:         88
        .size:           4
        .value_kind:     by_value
      - .offset:         92
        .size:           12
        .value_kind:     by_value
      - .offset:         104
        .size:           4
        .value_kind:     by_value
      - .offset:         108
        .size:           4
        .value_kind:     by_value
      - .offset:         112
        .size:           4
        .value_kind:     by_value
      - .offset:         116
        .size:           4
        .value_kind:     by_value
      - .offset:         120
        .size:           4
        .value_kind:     by_value
      - .offset:         124
        .size:           4
        .value_kind:     by_value
      - .offset:         128
        .size:           4
        .value_kind:     by_value
      - .offset:         132
        .size:           4
        .value_kind:     by_value
      - .offset:         136
        .size:           4
        .value_kind:     by_value
      - .offset:         140
        .size:           4
        .value_kind:     by_value
      - .offset:         144
        .size:           4
        .value_kind:     by_value
      - .offset:         152
        .size:           8
        .value_kind:     by_value
      - .offset:         160
        .size:           4
        .value_kind:     by_value
      - .offset:         164
        .size:           4
        .value_kind:     by_value
      - .offset:         168
        .size:           8
        .value_kind:     by_value
      - .offset:         176
        .size:           4
        .value_kind:     by_value
      - .offset:         180
        .size:           4
        .value_kind:     by_value
      - .offset:         184
        .size:           4
        .value_kind:     by_value
      - .offset:         188
        .size:           4
        .value_kind:     by_value
      - .offset:         192
        .size:           4
        .value_kind:     by_value
      - .offset:         200
        .size:           8
        .value_kind:     by_value
      - .offset:         208
        .size:           4
        .value_kind:     hidden_block_count_x
      - .offset:         212
        .size:           4
        .value_kind:     hidden_block_count_y
      - .offset:         216
        .size:           4
        .value_kind:     hidden_block_count_z
      - .offset:         220
        .size:           2
        .value_kind:     hidden_group_size_x
      - .offset:         222
        .size:           2
        .value_kind:     hidden_group_size_y
      - .offset:         224
        .size:           2
        .value_kind:     hidden_group_size_z
      - .offset:         226
        .size:           2
        .value_kind:     hidden_remainder_x
      - .offset:         228
        .size:           2
        .value_kind:     hidden_remainder_y
      - .offset:         230
        .size:           2
        .value_kind:     hidden_remainder_z
      - .offset:         248
        .size:           8
        .value_kind:     hidden_global_offset_x
      - .offset:         256
        .size:           8
        .value_kind:     hidden_global_offset_y
      - .offset:         264
        .size:           8
        .value_kind:     hidden_global_offset_z
      - .offset:         272
        .size:           2
        .value_kind:     hidden_grid_dims
      - .offset:         288
        .size:           8
        .value_kind:     hidden_hostcall_buffer
    .group_segment_fixed_size: 0
    .kernarg_segment_align: 8
    .kernarg_segment_size: 464
    .language:       OpenCL C
    .language_version:
      - 2
      - 0
    .max_flat_workgroup_size: 128
    .name:           _ZL18flash_attn_ext_f16ILi80ELi80ELi64ELi1ELb0ELb0EEvPKcS1_S1_S1_S1_PKiPfP15HIP_vector_typeIfLj2EEffffjfiS5_IjLj3EEiiiiiiiiiiiliiliiiiil
    .private_segment_fixed_size: 16
    .sgpr_count:     36
    .sgpr_spill_count: 0
    .symbol:         _ZL18flash_attn_ext_f16ILi80ELi80ELi64ELi1ELb0ELb0EEvPKcS1_S1_S1_S1_PKiPfP15HIP_vector_typeIfLj2EEffffjfiS5_IjLj3EEiiiiiiiiiiiliiliiiiil.kd
    .uniform_work_group_size: 1
    .uses_dynamic_stack: false
    .vgpr_count:     37
    .vgpr_spill_count: 0
    .wavefront_size: 32
    .workgroup_processor_mode: 1
  - .args:
      - .address_space:  global
        .offset:         0
        .size:           8
        .value_kind:     global_buffer
      - .address_space:  global
        .offset:         8
        .size:           8
        .value_kind:     global_buffer
      - .address_space:  global
        .offset:         16
        .size:           8
        .value_kind:     global_buffer
      - .address_space:  global
        .offset:         24
        .size:           8
        .value_kind:     global_buffer
      - .address_space:  global
        .offset:         32
        .size:           8
        .value_kind:     global_buffer
      - .address_space:  global
        .offset:         40
        .size:           8
        .value_kind:     global_buffer
      - .address_space:  global
        .offset:         48
        .size:           8
        .value_kind:     global_buffer
      - .address_space:  global
        .offset:         56
        .size:           8
        .value_kind:     global_buffer
      - .offset:         64
        .size:           4
        .value_kind:     by_value
      - .offset:         68
        .size:           4
        .value_kind:     by_value
      - .offset:         72
        .size:           4
        .value_kind:     by_value
      - .offset:         76
        .size:           4
        .value_kind:     by_value
      - .offset:         80
        .size:           4
        .value_kind:     by_value
      - .offset:         84
        .size:           4
        .value_kind:     by_value
      - .offset:         88
        .size:           4
        .value_kind:     by_value
      - .offset:         92
        .size:           12
        .value_kind:     by_value
      - .offset:         104
        .size:           4
        .value_kind:     by_value
      - .offset:         108
        .size:           4
        .value_kind:     by_value
      - .offset:         112
        .size:           4
        .value_kind:     by_value
      - .offset:         116
        .size:           4
        .value_kind:     by_value
      - .offset:         120
        .size:           4
        .value_kind:     by_value
      - .offset:         124
        .size:           4
        .value_kind:     by_value
      - .offset:         128
        .size:           4
        .value_kind:     by_value
      - .offset:         132
        .size:           4
        .value_kind:     by_value
      - .offset:         136
        .size:           4
        .value_kind:     by_value
      - .offset:         140
        .size:           4
        .value_kind:     by_value
      - .offset:         144
        .size:           4
        .value_kind:     by_value
      - .offset:         152
        .size:           8
        .value_kind:     by_value
      - .offset:         160
        .size:           4
        .value_kind:     by_value
      - .offset:         164
        .size:           4
        .value_kind:     by_value
      - .offset:         168
        .size:           8
        .value_kind:     by_value
      - .offset:         176
        .size:           4
        .value_kind:     by_value
      - .offset:         180
        .size:           4
        .value_kind:     by_value
      - .offset:         184
        .size:           4
        .value_kind:     by_value
      - .offset:         188
        .size:           4
        .value_kind:     by_value
      - .offset:         192
        .size:           4
        .value_kind:     by_value
      - .offset:         200
        .size:           8
        .value_kind:     by_value
      - .offset:         208
        .size:           4
        .value_kind:     hidden_block_count_x
      - .offset:         212
        .size:           4
        .value_kind:     hidden_block_count_y
      - .offset:         216
        .size:           4
        .value_kind:     hidden_block_count_z
      - .offset:         220
        .size:           2
        .value_kind:     hidden_group_size_x
      - .offset:         222
        .size:           2
        .value_kind:     hidden_group_size_y
      - .offset:         224
        .size:           2
        .value_kind:     hidden_group_size_z
      - .offset:         226
        .size:           2
        .value_kind:     hidden_remainder_x
      - .offset:         228
        .size:           2
        .value_kind:     hidden_remainder_y
      - .offset:         230
        .size:           2
        .value_kind:     hidden_remainder_z
      - .offset:         248
        .size:           8
        .value_kind:     hidden_global_offset_x
      - .offset:         256
        .size:           8
        .value_kind:     hidden_global_offset_y
      - .offset:         264
        .size:           8
        .value_kind:     hidden_global_offset_z
      - .offset:         272
        .size:           2
        .value_kind:     hidden_grid_dims
      - .offset:         288
        .size:           8
        .value_kind:     hidden_hostcall_buffer
    .group_segment_fixed_size: 0
    .kernarg_segment_align: 8
    .kernarg_segment_size: 464
    .language:       OpenCL C
    .language_version:
      - 2
      - 0
    .max_flat_workgroup_size: 128
    .name:           _ZL18flash_attn_ext_f16ILi80ELi80ELi64ELi1ELb1ELb0EEvPKcS1_S1_S1_S1_PKiPfP15HIP_vector_typeIfLj2EEffffjfiS5_IjLj3EEiiiiiiiiiiiliiliiiiil
    .private_segment_fixed_size: 16
    .sgpr_count:     36
    .sgpr_spill_count: 0
    .symbol:         _ZL18flash_attn_ext_f16ILi80ELi80ELi64ELi1ELb1ELb0EEvPKcS1_S1_S1_S1_PKiPfP15HIP_vector_typeIfLj2EEffffjfiS5_IjLj3EEiiiiiiiiiiiliiliiiiil.kd
    .uniform_work_group_size: 1
    .uses_dynamic_stack: false
    .vgpr_count:     37
    .vgpr_spill_count: 0
    .wavefront_size: 32
    .workgroup_processor_mode: 1
  - .args:
      - .address_space:  global
        .offset:         0
        .size:           8
        .value_kind:     global_buffer
      - .address_space:  global
        .offset:         8
        .size:           8
        .value_kind:     global_buffer
      - .offset:         16
        .size:           4
        .value_kind:     by_value
      - .offset:         20
        .size:           4
        .value_kind:     by_value
      - .offset:         24
        .size:           4
        .value_kind:     by_value
      - .offset:         28
        .size:           4
        .value_kind:     by_value
      - .offset:         32
        .size:           4
        .value_kind:     by_value
      - .offset:         36
        .size:           4
        .value_kind:     by_value
      - .offset:         40
        .size:           12
        .value_kind:     by_value
      - .offset:         52
        .size:           12
        .value_kind:     by_value
      - .offset:         64
        .size:           12
        .value_kind:     by_value
    .group_segment_fixed_size: 0
    .kernarg_segment_align: 8
    .kernarg_segment_size: 76
    .language:       OpenCL C
    .language_version:
      - 2
      - 0
    .max_flat_workgroup_size: 80
    .name:           _ZL33flash_attn_stream_k_fixup_uniformILi80ELi64ELi1EEvPfPK15HIP_vector_typeIfLj2EEiiiiiiS1_IjLj3EES5_S5_
    .private_segment_fixed_size: 0
    .sgpr_count:     22
    .sgpr_spill_count: 0
    .symbol:         _ZL33flash_attn_stream_k_fixup_uniformILi80ELi64ELi1EEvPfPK15HIP_vector_typeIfLj2EEiiiiiiS1_IjLj3EES5_S5_.kd
    .uniform_work_group_size: 1
    .uses_dynamic_stack: false
    .vgpr_count:     15
    .vgpr_spill_count: 0
    .wavefront_size: 32
    .workgroup_processor_mode: 1
  - .args:
      - .address_space:  global
        .offset:         0
        .size:           8
        .value_kind:     global_buffer
      - .address_space:  global
        .offset:         8
        .size:           8
        .value_kind:     global_buffer
      - .offset:         16
        .size:           4
        .value_kind:     by_value
      - .offset:         20
        .size:           4
        .value_kind:     by_value
      - .offset:         24
        .size:           4
        .value_kind:     by_value
      - .offset:         28
        .size:           4
        .value_kind:     by_value
      - .offset:         32
        .size:           12
        .value_kind:     by_value
      - .offset:         44
        .size:           12
        .value_kind:     by_value
      - .offset:         56
        .size:           12
        .value_kind:     by_value
      - .offset:         68
        .size:           12
        .value_kind:     by_value
      - .offset:         80
        .size:           4
        .value_kind:     hidden_block_count_x
      - .offset:         84
        .size:           4
        .value_kind:     hidden_block_count_y
      - .offset:         88
        .size:           4
        .value_kind:     hidden_block_count_z
      - .offset:         92
        .size:           2
        .value_kind:     hidden_group_size_x
      - .offset:         94
        .size:           2
        .value_kind:     hidden_group_size_y
      - .offset:         96
        .size:           2
        .value_kind:     hidden_group_size_z
      - .offset:         98
        .size:           2
        .value_kind:     hidden_remainder_x
      - .offset:         100
        .size:           2
        .value_kind:     hidden_remainder_y
      - .offset:         102
        .size:           2
        .value_kind:     hidden_remainder_z
      - .offset:         120
        .size:           8
        .value_kind:     hidden_global_offset_x
      - .offset:         128
        .size:           8
        .value_kind:     hidden_global_offset_y
      - .offset:         136
        .size:           8
        .value_kind:     hidden_global_offset_z
      - .offset:         144
        .size:           2
        .value_kind:     hidden_grid_dims
    .group_segment_fixed_size: 0
    .kernarg_segment_align: 8
    .kernarg_segment_size: 336
    .language:       OpenCL C
    .language_version:
      - 2
      - 0
    .max_flat_workgroup_size: 80
    .name:           _ZL33flash_attn_stream_k_fixup_generalILi80ELi64ELi1EEvPfPK15HIP_vector_typeIfLj2EEiiiiS1_IjLj3EES5_S5_S5_
    .private_segment_fixed_size: 0
    .sgpr_count:     34
    .sgpr_spill_count: 0
    .symbol:         _ZL33flash_attn_stream_k_fixup_generalILi80ELi64ELi1EEvPfPK15HIP_vector_typeIfLj2EEiiiiS1_IjLj3EES5_S5_S5_.kd
    .uniform_work_group_size: 1
    .uses_dynamic_stack: false
    .vgpr_count:     19
    .vgpr_spill_count: 0
    .wavefront_size: 32
    .workgroup_processor_mode: 1
  - .args:
      - .address_space:  global
        .offset:         0
        .size:           8
        .value_kind:     global_buffer
      - .address_space:  global
        .offset:         8
        .size:           8
        .value_kind:     global_buffer
      - .address_space:  global
        .offset:         16
        .size:           8
        .value_kind:     global_buffer
      - .offset:         24
        .size:           4
        .value_kind:     by_value
      - .offset:         32
        .size:           4
        .value_kind:     hidden_block_count_x
      - .offset:         36
        .size:           4
        .value_kind:     hidden_block_count_y
      - .offset:         40
        .size:           4
        .value_kind:     hidden_block_count_z
      - .offset:         44
        .size:           2
        .value_kind:     hidden_group_size_x
      - .offset:         46
        .size:           2
        .value_kind:     hidden_group_size_y
      - .offset:         48
        .size:           2
        .value_kind:     hidden_group_size_z
      - .offset:         50
        .size:           2
        .value_kind:     hidden_remainder_x
      - .offset:         52
        .size:           2
        .value_kind:     hidden_remainder_y
      - .offset:         54
        .size:           2
        .value_kind:     hidden_remainder_z
      - .offset:         72
        .size:           8
        .value_kind:     hidden_global_offset_x
      - .offset:         80
        .size:           8
        .value_kind:     hidden_global_offset_y
      - .offset:         88
        .size:           8
        .value_kind:     hidden_global_offset_z
      - .offset:         96
        .size:           2
        .value_kind:     hidden_grid_dims
      - .offset:         152
        .size:           4
        .value_kind:     hidden_dynamic_lds_size
    .group_segment_fixed_size: 0
    .kernarg_segment_align: 8
    .kernarg_segment_size: 288
    .language:       OpenCL C
    .language_version:
      - 2
      - 0
    .max_flat_workgroup_size: 80
    .name:           _ZL26flash_attn_combine_resultsILi80EEvPKfPK15HIP_vector_typeIfLj2EEPfi
    .private_segment_fixed_size: 0
    .sgpr_count:     22
    .sgpr_spill_count: 0
    .symbol:         _ZL26flash_attn_combine_resultsILi80EEvPKfPK15HIP_vector_typeIfLj2EEPfi.kd
    .uniform_work_group_size: 1
    .uses_dynamic_stack: false
    .vgpr_count:     57
    .vgpr_spill_count: 0
    .wavefront_size: 32
    .workgroup_processor_mode: 1
  - .args:
      - .address_space:  global
        .offset:         0
        .size:           8
        .value_kind:     global_buffer
      - .address_space:  global
        .offset:         8
        .size:           8
        .value_kind:     global_buffer
      - .address_space:  global
        .offset:         16
        .size:           8
        .value_kind:     global_buffer
      - .address_space:  global
        .offset:         24
        .size:           8
        .value_kind:     global_buffer
      - .address_space:  global
        .offset:         32
        .size:           8
        .value_kind:     global_buffer
      - .address_space:  global
        .offset:         40
        .size:           8
        .value_kind:     global_buffer
      - .address_space:  global
        .offset:         48
        .size:           8
        .value_kind:     global_buffer
      - .address_space:  global
        .offset:         56
        .size:           8
        .value_kind:     global_buffer
      - .offset:         64
        .size:           4
        .value_kind:     by_value
      - .offset:         68
        .size:           4
        .value_kind:     by_value
      - .offset:         72
        .size:           4
        .value_kind:     by_value
      - .offset:         76
        .size:           4
        .value_kind:     by_value
      - .offset:         80
        .size:           4
        .value_kind:     by_value
      - .offset:         84
        .size:           4
        .value_kind:     by_value
      - .offset:         88
        .size:           4
        .value_kind:     by_value
      - .offset:         92
        .size:           12
        .value_kind:     by_value
      - .offset:         104
        .size:           4
        .value_kind:     by_value
      - .offset:         108
        .size:           4
        .value_kind:     by_value
      - .offset:         112
        .size:           4
        .value_kind:     by_value
      - .offset:         116
        .size:           4
        .value_kind:     by_value
      - .offset:         120
        .size:           4
        .value_kind:     by_value
      - .offset:         124
        .size:           4
        .value_kind:     by_value
      - .offset:         128
        .size:           4
        .value_kind:     by_value
      - .offset:         132
        .size:           4
        .value_kind:     by_value
      - .offset:         136
        .size:           4
        .value_kind:     by_value
      - .offset:         140
        .size:           4
        .value_kind:     by_value
      - .offset:         144
        .size:           4
        .value_kind:     by_value
      - .offset:         152
        .size:           8
        .value_kind:     by_value
      - .offset:         160
        .size:           4
        .value_kind:     by_value
      - .offset:         164
        .size:           4
        .value_kind:     by_value
      - .offset:         168
        .size:           8
        .value_kind:     by_value
      - .offset:         176
        .size:           4
        .value_kind:     by_value
      - .offset:         180
        .size:           4
        .value_kind:     by_value
      - .offset:         184
        .size:           4
        .value_kind:     by_value
      - .offset:         188
        .size:           4
        .value_kind:     by_value
      - .offset:         192
        .size:           4
        .value_kind:     by_value
      - .offset:         200
        .size:           8
        .value_kind:     by_value
      - .offset:         208
        .size:           4
        .value_kind:     hidden_block_count_x
      - .offset:         212
        .size:           4
        .value_kind:     hidden_block_count_y
      - .offset:         216
        .size:           4
        .value_kind:     hidden_block_count_z
      - .offset:         220
        .size:           2
        .value_kind:     hidden_group_size_x
      - .offset:         222
        .size:           2
        .value_kind:     hidden_group_size_y
      - .offset:         224
        .size:           2
        .value_kind:     hidden_group_size_z
      - .offset:         226
        .size:           2
        .value_kind:     hidden_remainder_x
      - .offset:         228
        .size:           2
        .value_kind:     hidden_remainder_y
      - .offset:         230
        .size:           2
        .value_kind:     hidden_remainder_z
      - .offset:         248
        .size:           8
        .value_kind:     hidden_global_offset_x
      - .offset:         256
        .size:           8
        .value_kind:     hidden_global_offset_y
      - .offset:         264
        .size:           8
        .value_kind:     hidden_global_offset_z
      - .offset:         272
        .size:           2
        .value_kind:     hidden_grid_dims
      - .offset:         288
        .size:           8
        .value_kind:     hidden_hostcall_buffer
    .group_segment_fixed_size: 0
    .kernarg_segment_align: 8
    .kernarg_segment_size: 464
    .language:       OpenCL C
    .language_version:
      - 2
      - 0
    .max_flat_workgroup_size: 128
    .name:           _ZL18flash_attn_ext_f16ILi96ELi96ELi64ELi1ELb0ELb0EEvPKcS1_S1_S1_S1_PKiPfP15HIP_vector_typeIfLj2EEffffjfiS5_IjLj3EEiiiiiiiiiiiliiliiiiil
    .private_segment_fixed_size: 16
    .sgpr_count:     36
    .sgpr_spill_count: 0
    .symbol:         _ZL18flash_attn_ext_f16ILi96ELi96ELi64ELi1ELb0ELb0EEvPKcS1_S1_S1_S1_PKiPfP15HIP_vector_typeIfLj2EEffffjfiS5_IjLj3EEiiiiiiiiiiiliiliiiiil.kd
    .uniform_work_group_size: 1
    .uses_dynamic_stack: false
    .vgpr_count:     37
    .vgpr_spill_count: 0
    .wavefront_size: 32
    .workgroup_processor_mode: 1
  - .args:
      - .address_space:  global
        .offset:         0
        .size:           8
        .value_kind:     global_buffer
      - .address_space:  global
        .offset:         8
        .size:           8
        .value_kind:     global_buffer
      - .address_space:  global
        .offset:         16
        .size:           8
        .value_kind:     global_buffer
      - .address_space:  global
        .offset:         24
        .size:           8
        .value_kind:     global_buffer
      - .address_space:  global
        .offset:         32
        .size:           8
        .value_kind:     global_buffer
      - .address_space:  global
        .offset:         40
        .size:           8
        .value_kind:     global_buffer
      - .address_space:  global
        .offset:         48
        .size:           8
        .value_kind:     global_buffer
      - .address_space:  global
        .offset:         56
        .size:           8
        .value_kind:     global_buffer
      - .offset:         64
        .size:           4
        .value_kind:     by_value
      - .offset:         68
        .size:           4
        .value_kind:     by_value
      - .offset:         72
        .size:           4
        .value_kind:     by_value
      - .offset:         76
        .size:           4
        .value_kind:     by_value
      - .offset:         80
        .size:           4
        .value_kind:     by_value
      - .offset:         84
        .size:           4
        .value_kind:     by_value
      - .offset:         88
        .size:           4
        .value_kind:     by_value
      - .offset:         92
        .size:           12
        .value_kind:     by_value
      - .offset:         104
        .size:           4
        .value_kind:     by_value
      - .offset:         108
        .size:           4
        .value_kind:     by_value
      - .offset:         112
        .size:           4
        .value_kind:     by_value
      - .offset:         116
        .size:           4
        .value_kind:     by_value
      - .offset:         120
        .size:           4
        .value_kind:     by_value
      - .offset:         124
        .size:           4
        .value_kind:     by_value
      - .offset:         128
        .size:           4
        .value_kind:     by_value
      - .offset:         132
        .size:           4
        .value_kind:     by_value
      - .offset:         136
        .size:           4
        .value_kind:     by_value
      - .offset:         140
        .size:           4
        .value_kind:     by_value
      - .offset:         144
        .size:           4
        .value_kind:     by_value
      - .offset:         152
        .size:           8
        .value_kind:     by_value
      - .offset:         160
        .size:           4
        .value_kind:     by_value
      - .offset:         164
        .size:           4
        .value_kind:     by_value
      - .offset:         168
        .size:           8
        .value_kind:     by_value
      - .offset:         176
        .size:           4
        .value_kind:     by_value
      - .offset:         180
        .size:           4
        .value_kind:     by_value
      - .offset:         184
        .size:           4
        .value_kind:     by_value
      - .offset:         188
        .size:           4
        .value_kind:     by_value
      - .offset:         192
        .size:           4
        .value_kind:     by_value
      - .offset:         200
        .size:           8
        .value_kind:     by_value
      - .offset:         208
        .size:           4
        .value_kind:     hidden_block_count_x
      - .offset:         212
        .size:           4
        .value_kind:     hidden_block_count_y
      - .offset:         216
        .size:           4
        .value_kind:     hidden_block_count_z
      - .offset:         220
        .size:           2
        .value_kind:     hidden_group_size_x
      - .offset:         222
        .size:           2
        .value_kind:     hidden_group_size_y
      - .offset:         224
        .size:           2
        .value_kind:     hidden_group_size_z
      - .offset:         226
        .size:           2
        .value_kind:     hidden_remainder_x
      - .offset:         228
        .size:           2
        .value_kind:     hidden_remainder_y
      - .offset:         230
        .size:           2
        .value_kind:     hidden_remainder_z
      - .offset:         248
        .size:           8
        .value_kind:     hidden_global_offset_x
      - .offset:         256
        .size:           8
        .value_kind:     hidden_global_offset_y
      - .offset:         264
        .size:           8
        .value_kind:     hidden_global_offset_z
      - .offset:         272
        .size:           2
        .value_kind:     hidden_grid_dims
      - .offset:         288
        .size:           8
        .value_kind:     hidden_hostcall_buffer
    .group_segment_fixed_size: 0
    .kernarg_segment_align: 8
    .kernarg_segment_size: 464
    .language:       OpenCL C
    .language_version:
      - 2
      - 0
    .max_flat_workgroup_size: 128
    .name:           _ZL18flash_attn_ext_f16ILi96ELi96ELi64ELi1ELb1ELb0EEvPKcS1_S1_S1_S1_PKiPfP15HIP_vector_typeIfLj2EEffffjfiS5_IjLj3EEiiiiiiiiiiiliiliiiiil
    .private_segment_fixed_size: 16
    .sgpr_count:     36
    .sgpr_spill_count: 0
    .symbol:         _ZL18flash_attn_ext_f16ILi96ELi96ELi64ELi1ELb1ELb0EEvPKcS1_S1_S1_S1_PKiPfP15HIP_vector_typeIfLj2EEffffjfiS5_IjLj3EEiiiiiiiiiiiliiliiiiil.kd
    .uniform_work_group_size: 1
    .uses_dynamic_stack: false
    .vgpr_count:     37
    .vgpr_spill_count: 0
    .wavefront_size: 32
    .workgroup_processor_mode: 1
  - .args:
      - .address_space:  global
        .offset:         0
        .size:           8
        .value_kind:     global_buffer
      - .address_space:  global
        .offset:         8
        .size:           8
        .value_kind:     global_buffer
      - .offset:         16
        .size:           4
        .value_kind:     by_value
      - .offset:         20
        .size:           4
        .value_kind:     by_value
      - .offset:         24
        .size:           4
        .value_kind:     by_value
      - .offset:         28
        .size:           4
        .value_kind:     by_value
      - .offset:         32
        .size:           4
        .value_kind:     by_value
      - .offset:         36
        .size:           4
        .value_kind:     by_value
      - .offset:         40
        .size:           12
        .value_kind:     by_value
      - .offset:         52
        .size:           12
        .value_kind:     by_value
      - .offset:         64
        .size:           12
        .value_kind:     by_value
    .group_segment_fixed_size: 0
    .kernarg_segment_align: 8
    .kernarg_segment_size: 76
    .language:       OpenCL C
    .language_version:
      - 2
      - 0
    .max_flat_workgroup_size: 96
    .name:           _ZL33flash_attn_stream_k_fixup_uniformILi96ELi64ELi1EEvPfPK15HIP_vector_typeIfLj2EEiiiiiiS1_IjLj3EES5_S5_
    .private_segment_fixed_size: 0
    .sgpr_count:     22
    .sgpr_spill_count: 0
    .symbol:         _ZL33flash_attn_stream_k_fixup_uniformILi96ELi64ELi1EEvPfPK15HIP_vector_typeIfLj2EEiiiiiiS1_IjLj3EES5_S5_.kd
    .uniform_work_group_size: 1
    .uses_dynamic_stack: false
    .vgpr_count:     15
    .vgpr_spill_count: 0
    .wavefront_size: 32
    .workgroup_processor_mode: 1
  - .args:
      - .address_space:  global
        .offset:         0
        .size:           8
        .value_kind:     global_buffer
      - .address_space:  global
        .offset:         8
        .size:           8
        .value_kind:     global_buffer
      - .offset:         16
        .size:           4
        .value_kind:     by_value
      - .offset:         20
        .size:           4
        .value_kind:     by_value
      - .offset:         24
        .size:           4
        .value_kind:     by_value
      - .offset:         28
        .size:           4
        .value_kind:     by_value
      - .offset:         32
        .size:           12
        .value_kind:     by_value
      - .offset:         44
        .size:           12
        .value_kind:     by_value
      - .offset:         56
        .size:           12
        .value_kind:     by_value
      - .offset:         68
        .size:           12
        .value_kind:     by_value
      - .offset:         80
        .size:           4
        .value_kind:     hidden_block_count_x
      - .offset:         84
        .size:           4
        .value_kind:     hidden_block_count_y
      - .offset:         88
        .size:           4
        .value_kind:     hidden_block_count_z
      - .offset:         92
        .size:           2
        .value_kind:     hidden_group_size_x
      - .offset:         94
        .size:           2
        .value_kind:     hidden_group_size_y
      - .offset:         96
        .size:           2
        .value_kind:     hidden_group_size_z
      - .offset:         98
        .size:           2
        .value_kind:     hidden_remainder_x
      - .offset:         100
        .size:           2
        .value_kind:     hidden_remainder_y
      - .offset:         102
        .size:           2
        .value_kind:     hidden_remainder_z
      - .offset:         120
        .size:           8
        .value_kind:     hidden_global_offset_x
      - .offset:         128
        .size:           8
        .value_kind:     hidden_global_offset_y
      - .offset:         136
        .size:           8
        .value_kind:     hidden_global_offset_z
      - .offset:         144
        .size:           2
        .value_kind:     hidden_grid_dims
    .group_segment_fixed_size: 0
    .kernarg_segment_align: 8
    .kernarg_segment_size: 336
    .language:       OpenCL C
    .language_version:
      - 2
      - 0
    .max_flat_workgroup_size: 96
    .name:           _ZL33flash_attn_stream_k_fixup_generalILi96ELi64ELi1EEvPfPK15HIP_vector_typeIfLj2EEiiiiS1_IjLj3EES5_S5_S5_
    .private_segment_fixed_size: 0
    .sgpr_count:     34
    .sgpr_spill_count: 0
    .symbol:         _ZL33flash_attn_stream_k_fixup_generalILi96ELi64ELi1EEvPfPK15HIP_vector_typeIfLj2EEiiiiS1_IjLj3EES5_S5_S5_.kd
    .uniform_work_group_size: 1
    .uses_dynamic_stack: false
    .vgpr_count:     19
    .vgpr_spill_count: 0
    .wavefront_size: 32
    .workgroup_processor_mode: 1
  - .args:
      - .address_space:  global
        .offset:         0
        .size:           8
        .value_kind:     global_buffer
      - .address_space:  global
        .offset:         8
        .size:           8
        .value_kind:     global_buffer
      - .address_space:  global
        .offset:         16
        .size:           8
        .value_kind:     global_buffer
      - .offset:         24
        .size:           4
        .value_kind:     by_value
      - .offset:         32
        .size:           4
        .value_kind:     hidden_block_count_x
      - .offset:         36
        .size:           4
        .value_kind:     hidden_block_count_y
      - .offset:         40
        .size:           4
        .value_kind:     hidden_block_count_z
      - .offset:         44
        .size:           2
        .value_kind:     hidden_group_size_x
      - .offset:         46
        .size:           2
        .value_kind:     hidden_group_size_y
      - .offset:         48
        .size:           2
        .value_kind:     hidden_group_size_z
      - .offset:         50
        .size:           2
        .value_kind:     hidden_remainder_x
      - .offset:         52
        .size:           2
        .value_kind:     hidden_remainder_y
      - .offset:         54
        .size:           2
        .value_kind:     hidden_remainder_z
      - .offset:         72
        .size:           8
        .value_kind:     hidden_global_offset_x
      - .offset:         80
        .size:           8
        .value_kind:     hidden_global_offset_y
      - .offset:         88
        .size:           8
        .value_kind:     hidden_global_offset_z
      - .offset:         96
        .size:           2
        .value_kind:     hidden_grid_dims
      - .offset:         152
        .size:           4
        .value_kind:     hidden_dynamic_lds_size
    .group_segment_fixed_size: 0
    .kernarg_segment_align: 8
    .kernarg_segment_size: 288
    .language:       OpenCL C
    .language_version:
      - 2
      - 0
    .max_flat_workgroup_size: 96
    .name:           _ZL26flash_attn_combine_resultsILi96EEvPKfPK15HIP_vector_typeIfLj2EEPfi
    .private_segment_fixed_size: 0
    .sgpr_count:     22
    .sgpr_spill_count: 0
    .symbol:         _ZL26flash_attn_combine_resultsILi96EEvPKfPK15HIP_vector_typeIfLj2EEPfi.kd
    .uniform_work_group_size: 1
    .uses_dynamic_stack: false
    .vgpr_count:     57
    .vgpr_spill_count: 0
    .wavefront_size: 32
    .workgroup_processor_mode: 1
  - .args:
      - .address_space:  global
        .offset:         0
        .size:           8
        .value_kind:     global_buffer
      - .address_space:  global
        .offset:         8
        .size:           8
        .value_kind:     global_buffer
      - .address_space:  global
        .offset:         16
        .size:           8
        .value_kind:     global_buffer
      - .address_space:  global
        .offset:         24
        .size:           8
        .value_kind:     global_buffer
      - .address_space:  global
        .offset:         32
        .size:           8
        .value_kind:     global_buffer
      - .address_space:  global
        .offset:         40
        .size:           8
        .value_kind:     global_buffer
      - .address_space:  global
        .offset:         48
        .size:           8
        .value_kind:     global_buffer
      - .address_space:  global
        .offset:         56
        .size:           8
        .value_kind:     global_buffer
      - .offset:         64
        .size:           4
        .value_kind:     by_value
      - .offset:         68
        .size:           4
        .value_kind:     by_value
      - .offset:         72
        .size:           4
        .value_kind:     by_value
      - .offset:         76
        .size:           4
        .value_kind:     by_value
      - .offset:         80
        .size:           4
        .value_kind:     by_value
      - .offset:         84
        .size:           4
        .value_kind:     by_value
      - .offset:         88
        .size:           4
        .value_kind:     by_value
      - .offset:         92
        .size:           12
        .value_kind:     by_value
      - .offset:         104
        .size:           4
        .value_kind:     by_value
      - .offset:         108
        .size:           4
        .value_kind:     by_value
      - .offset:         112
        .size:           4
        .value_kind:     by_value
      - .offset:         116
        .size:           4
        .value_kind:     by_value
      - .offset:         120
        .size:           4
        .value_kind:     by_value
      - .offset:         124
        .size:           4
        .value_kind:     by_value
      - .offset:         128
        .size:           4
        .value_kind:     by_value
      - .offset:         132
        .size:           4
        .value_kind:     by_value
      - .offset:         136
        .size:           4
        .value_kind:     by_value
      - .offset:         140
        .size:           4
        .value_kind:     by_value
      - .offset:         144
        .size:           4
        .value_kind:     by_value
      - .offset:         152
        .size:           8
        .value_kind:     by_value
      - .offset:         160
        .size:           4
        .value_kind:     by_value
      - .offset:         164
        .size:           4
        .value_kind:     by_value
      - .offset:         168
        .size:           8
        .value_kind:     by_value
      - .offset:         176
        .size:           4
        .value_kind:     by_value
      - .offset:         180
        .size:           4
        .value_kind:     by_value
      - .offset:         184
        .size:           4
        .value_kind:     by_value
      - .offset:         188
        .size:           4
        .value_kind:     by_value
      - .offset:         192
        .size:           4
        .value_kind:     by_value
      - .offset:         200
        .size:           8
        .value_kind:     by_value
      - .offset:         208
        .size:           4
        .value_kind:     hidden_block_count_x
      - .offset:         212
        .size:           4
        .value_kind:     hidden_block_count_y
      - .offset:         216
        .size:           4
        .value_kind:     hidden_block_count_z
      - .offset:         220
        .size:           2
        .value_kind:     hidden_group_size_x
      - .offset:         222
        .size:           2
        .value_kind:     hidden_group_size_y
      - .offset:         224
        .size:           2
        .value_kind:     hidden_group_size_z
      - .offset:         226
        .size:           2
        .value_kind:     hidden_remainder_x
      - .offset:         228
        .size:           2
        .value_kind:     hidden_remainder_y
      - .offset:         230
        .size:           2
        .value_kind:     hidden_remainder_z
      - .offset:         248
        .size:           8
        .value_kind:     hidden_global_offset_x
      - .offset:         256
        .size:           8
        .value_kind:     hidden_global_offset_y
      - .offset:         264
        .size:           8
        .value_kind:     hidden_global_offset_z
      - .offset:         272
        .size:           2
        .value_kind:     hidden_grid_dims
      - .offset:         288
        .size:           8
        .value_kind:     hidden_hostcall_buffer
    .group_segment_fixed_size: 0
    .kernarg_segment_align: 8
    .kernarg_segment_size: 464
    .language:       OpenCL C
    .language_version:
      - 2
      - 0
    .max_flat_workgroup_size: 128
    .name:           _ZL18flash_attn_ext_f16ILi112ELi112ELi64ELi1ELb0ELb0EEvPKcS1_S1_S1_S1_PKiPfP15HIP_vector_typeIfLj2EEffffjfiS5_IjLj3EEiiiiiiiiiiiliiliiiiil
    .private_segment_fixed_size: 16
    .sgpr_count:     36
    .sgpr_spill_count: 0
    .symbol:         _ZL18flash_attn_ext_f16ILi112ELi112ELi64ELi1ELb0ELb0EEvPKcS1_S1_S1_S1_PKiPfP15HIP_vector_typeIfLj2EEffffjfiS5_IjLj3EEiiiiiiiiiiiliiliiiiil.kd
    .uniform_work_group_size: 1
    .uses_dynamic_stack: false
    .vgpr_count:     37
    .vgpr_spill_count: 0
    .wavefront_size: 32
    .workgroup_processor_mode: 1
  - .args:
      - .address_space:  global
        .offset:         0
        .size:           8
        .value_kind:     global_buffer
      - .address_space:  global
        .offset:         8
        .size:           8
        .value_kind:     global_buffer
      - .address_space:  global
        .offset:         16
        .size:           8
        .value_kind:     global_buffer
      - .address_space:  global
        .offset:         24
        .size:           8
        .value_kind:     global_buffer
      - .address_space:  global
        .offset:         32
        .size:           8
        .value_kind:     global_buffer
      - .address_space:  global
        .offset:         40
        .size:           8
        .value_kind:     global_buffer
      - .address_space:  global
        .offset:         48
        .size:           8
        .value_kind:     global_buffer
      - .address_space:  global
        .offset:         56
        .size:           8
        .value_kind:     global_buffer
      - .offset:         64
        .size:           4
        .value_kind:     by_value
      - .offset:         68
        .size:           4
        .value_kind:     by_value
      - .offset:         72
        .size:           4
        .value_kind:     by_value
      - .offset:         76
        .size:           4
        .value_kind:     by_value
      - .offset:         80
        .size:           4
        .value_kind:     by_value
      - .offset:         84
        .size:           4
        .value_kind:     by_value
      - .offset:         88
        .size:           4
        .value_kind:     by_value
      - .offset:         92
        .size:           12
        .value_kind:     by_value
      - .offset:         104
        .size:           4
        .value_kind:     by_value
      - .offset:         108
        .size:           4
        .value_kind:     by_value
      - .offset:         112
        .size:           4
        .value_kind:     by_value
      - .offset:         116
        .size:           4
        .value_kind:     by_value
      - .offset:         120
        .size:           4
        .value_kind:     by_value
      - .offset:         124
        .size:           4
        .value_kind:     by_value
      - .offset:         128
        .size:           4
        .value_kind:     by_value
      - .offset:         132
        .size:           4
        .value_kind:     by_value
      - .offset:         136
        .size:           4
        .value_kind:     by_value
      - .offset:         140
        .size:           4
        .value_kind:     by_value
      - .offset:         144
        .size:           4
        .value_kind:     by_value
      - .offset:         152
        .size:           8
        .value_kind:     by_value
      - .offset:         160
        .size:           4
        .value_kind:     by_value
      - .offset:         164
        .size:           4
        .value_kind:     by_value
      - .offset:         168
        .size:           8
        .value_kind:     by_value
      - .offset:         176
        .size:           4
        .value_kind:     by_value
      - .offset:         180
        .size:           4
        .value_kind:     by_value
      - .offset:         184
        .size:           4
        .value_kind:     by_value
      - .offset:         188
        .size:           4
        .value_kind:     by_value
      - .offset:         192
        .size:           4
        .value_kind:     by_value
      - .offset:         200
        .size:           8
        .value_kind:     by_value
      - .offset:         208
        .size:           4
        .value_kind:     hidden_block_count_x
      - .offset:         212
        .size:           4
        .value_kind:     hidden_block_count_y
      - .offset:         216
        .size:           4
        .value_kind:     hidden_block_count_z
      - .offset:         220
        .size:           2
        .value_kind:     hidden_group_size_x
      - .offset:         222
        .size:           2
        .value_kind:     hidden_group_size_y
      - .offset:         224
        .size:           2
        .value_kind:     hidden_group_size_z
      - .offset:         226
        .size:           2
        .value_kind:     hidden_remainder_x
      - .offset:         228
        .size:           2
        .value_kind:     hidden_remainder_y
      - .offset:         230
        .size:           2
        .value_kind:     hidden_remainder_z
      - .offset:         248
        .size:           8
        .value_kind:     hidden_global_offset_x
      - .offset:         256
        .size:           8
        .value_kind:     hidden_global_offset_y
      - .offset:         264
        .size:           8
        .value_kind:     hidden_global_offset_z
      - .offset:         272
        .size:           2
        .value_kind:     hidden_grid_dims
      - .offset:         288
        .size:           8
        .value_kind:     hidden_hostcall_buffer
    .group_segment_fixed_size: 0
    .kernarg_segment_align: 8
    .kernarg_segment_size: 464
    .language:       OpenCL C
    .language_version:
      - 2
      - 0
    .max_flat_workgroup_size: 128
    .name:           _ZL18flash_attn_ext_f16ILi112ELi112ELi64ELi1ELb1ELb0EEvPKcS1_S1_S1_S1_PKiPfP15HIP_vector_typeIfLj2EEffffjfiS5_IjLj3EEiiiiiiiiiiiliiliiiiil
    .private_segment_fixed_size: 16
    .sgpr_count:     36
    .sgpr_spill_count: 0
    .symbol:         _ZL18flash_attn_ext_f16ILi112ELi112ELi64ELi1ELb1ELb0EEvPKcS1_S1_S1_S1_PKiPfP15HIP_vector_typeIfLj2EEffffjfiS5_IjLj3EEiiiiiiiiiiiliiliiiiil.kd
    .uniform_work_group_size: 1
    .uses_dynamic_stack: false
    .vgpr_count:     37
    .vgpr_spill_count: 0
    .wavefront_size: 32
    .workgroup_processor_mode: 1
  - .args:
      - .address_space:  global
        .offset:         0
        .size:           8
        .value_kind:     global_buffer
      - .address_space:  global
        .offset:         8
        .size:           8
        .value_kind:     global_buffer
      - .offset:         16
        .size:           4
        .value_kind:     by_value
      - .offset:         20
        .size:           4
        .value_kind:     by_value
      - .offset:         24
        .size:           4
        .value_kind:     by_value
      - .offset:         28
        .size:           4
        .value_kind:     by_value
      - .offset:         32
        .size:           4
        .value_kind:     by_value
      - .offset:         36
        .size:           4
        .value_kind:     by_value
      - .offset:         40
        .size:           12
        .value_kind:     by_value
      - .offset:         52
        .size:           12
        .value_kind:     by_value
      - .offset:         64
        .size:           12
        .value_kind:     by_value
    .group_segment_fixed_size: 0
    .kernarg_segment_align: 8
    .kernarg_segment_size: 76
    .language:       OpenCL C
    .language_version:
      - 2
      - 0
    .max_flat_workgroup_size: 112
    .name:           _ZL33flash_attn_stream_k_fixup_uniformILi112ELi64ELi1EEvPfPK15HIP_vector_typeIfLj2EEiiiiiiS1_IjLj3EES5_S5_
    .private_segment_fixed_size: 0
    .sgpr_count:     22
    .sgpr_spill_count: 0
    .symbol:         _ZL33flash_attn_stream_k_fixup_uniformILi112ELi64ELi1EEvPfPK15HIP_vector_typeIfLj2EEiiiiiiS1_IjLj3EES5_S5_.kd
    .uniform_work_group_size: 1
    .uses_dynamic_stack: false
    .vgpr_count:     15
    .vgpr_spill_count: 0
    .wavefront_size: 32
    .workgroup_processor_mode: 1
  - .args:
      - .address_space:  global
        .offset:         0
        .size:           8
        .value_kind:     global_buffer
      - .address_space:  global
        .offset:         8
        .size:           8
        .value_kind:     global_buffer
      - .offset:         16
        .size:           4
        .value_kind:     by_value
      - .offset:         20
        .size:           4
        .value_kind:     by_value
      - .offset:         24
        .size:           4
        .value_kind:     by_value
      - .offset:         28
        .size:           4
        .value_kind:     by_value
      - .offset:         32
        .size:           12
        .value_kind:     by_value
      - .offset:         44
        .size:           12
        .value_kind:     by_value
      - .offset:         56
        .size:           12
        .value_kind:     by_value
      - .offset:         68
        .size:           12
        .value_kind:     by_value
      - .offset:         80
        .size:           4
        .value_kind:     hidden_block_count_x
      - .offset:         84
        .size:           4
        .value_kind:     hidden_block_count_y
      - .offset:         88
        .size:           4
        .value_kind:     hidden_block_count_z
      - .offset:         92
        .size:           2
        .value_kind:     hidden_group_size_x
      - .offset:         94
        .size:           2
        .value_kind:     hidden_group_size_y
      - .offset:         96
        .size:           2
        .value_kind:     hidden_group_size_z
      - .offset:         98
        .size:           2
        .value_kind:     hidden_remainder_x
      - .offset:         100
        .size:           2
        .value_kind:     hidden_remainder_y
      - .offset:         102
        .size:           2
        .value_kind:     hidden_remainder_z
      - .offset:         120
        .size:           8
        .value_kind:     hidden_global_offset_x
      - .offset:         128
        .size:           8
        .value_kind:     hidden_global_offset_y
      - .offset:         136
        .size:           8
        .value_kind:     hidden_global_offset_z
      - .offset:         144
        .size:           2
        .value_kind:     hidden_grid_dims
    .group_segment_fixed_size: 0
    .kernarg_segment_align: 8
    .kernarg_segment_size: 336
    .language:       OpenCL C
    .language_version:
      - 2
      - 0
    .max_flat_workgroup_size: 112
    .name:           _ZL33flash_attn_stream_k_fixup_generalILi112ELi64ELi1EEvPfPK15HIP_vector_typeIfLj2EEiiiiS1_IjLj3EES5_S5_S5_
    .private_segment_fixed_size: 0
    .sgpr_count:     34
    .sgpr_spill_count: 0
    .symbol:         _ZL33flash_attn_stream_k_fixup_generalILi112ELi64ELi1EEvPfPK15HIP_vector_typeIfLj2EEiiiiS1_IjLj3EES5_S5_S5_.kd
    .uniform_work_group_size: 1
    .uses_dynamic_stack: false
    .vgpr_count:     19
    .vgpr_spill_count: 0
    .wavefront_size: 32
    .workgroup_processor_mode: 1
  - .args:
      - .address_space:  global
        .offset:         0
        .size:           8
        .value_kind:     global_buffer
      - .address_space:  global
        .offset:         8
        .size:           8
        .value_kind:     global_buffer
      - .address_space:  global
        .offset:         16
        .size:           8
        .value_kind:     global_buffer
      - .offset:         24
        .size:           4
        .value_kind:     by_value
      - .offset:         32
        .size:           4
        .value_kind:     hidden_block_count_x
      - .offset:         36
        .size:           4
        .value_kind:     hidden_block_count_y
      - .offset:         40
        .size:           4
        .value_kind:     hidden_block_count_z
      - .offset:         44
        .size:           2
        .value_kind:     hidden_group_size_x
      - .offset:         46
        .size:           2
        .value_kind:     hidden_group_size_y
      - .offset:         48
        .size:           2
        .value_kind:     hidden_group_size_z
      - .offset:         50
        .size:           2
        .value_kind:     hidden_remainder_x
      - .offset:         52
        .size:           2
        .value_kind:     hidden_remainder_y
      - .offset:         54
        .size:           2
        .value_kind:     hidden_remainder_z
      - .offset:         72
        .size:           8
        .value_kind:     hidden_global_offset_x
      - .offset:         80
        .size:           8
        .value_kind:     hidden_global_offset_y
      - .offset:         88
        .size:           8
        .value_kind:     hidden_global_offset_z
      - .offset:         96
        .size:           2
        .value_kind:     hidden_grid_dims
      - .offset:         152
        .size:           4
        .value_kind:     hidden_dynamic_lds_size
    .group_segment_fixed_size: 0
    .kernarg_segment_align: 8
    .kernarg_segment_size: 288
    .language:       OpenCL C
    .language_version:
      - 2
      - 0
    .max_flat_workgroup_size: 112
    .name:           _ZL26flash_attn_combine_resultsILi112EEvPKfPK15HIP_vector_typeIfLj2EEPfi
    .private_segment_fixed_size: 0
    .sgpr_count:     22
    .sgpr_spill_count: 0
    .symbol:         _ZL26flash_attn_combine_resultsILi112EEvPKfPK15HIP_vector_typeIfLj2EEPfi.kd
    .uniform_work_group_size: 1
    .uses_dynamic_stack: false
    .vgpr_count:     57
    .vgpr_spill_count: 0
    .wavefront_size: 32
    .workgroup_processor_mode: 1
  - .args:
      - .address_space:  global
        .offset:         0
        .size:           8
        .value_kind:     global_buffer
      - .address_space:  global
        .offset:         8
        .size:           8
        .value_kind:     global_buffer
      - .address_space:  global
        .offset:         16
        .size:           8
        .value_kind:     global_buffer
      - .address_space:  global
        .offset:         24
        .size:           8
        .value_kind:     global_buffer
      - .address_space:  global
        .offset:         32
        .size:           8
        .value_kind:     global_buffer
      - .address_space:  global
        .offset:         40
        .size:           8
        .value_kind:     global_buffer
      - .address_space:  global
        .offset:         48
        .size:           8
        .value_kind:     global_buffer
      - .address_space:  global
        .offset:         56
        .size:           8
        .value_kind:     global_buffer
      - .offset:         64
        .size:           4
        .value_kind:     by_value
      - .offset:         68
        .size:           4
        .value_kind:     by_value
      - .offset:         72
        .size:           4
        .value_kind:     by_value
      - .offset:         76
        .size:           4
        .value_kind:     by_value
      - .offset:         80
        .size:           4
        .value_kind:     by_value
      - .offset:         84
        .size:           4
        .value_kind:     by_value
      - .offset:         88
        .size:           4
        .value_kind:     by_value
      - .offset:         92
        .size:           12
        .value_kind:     by_value
      - .offset:         104
        .size:           4
        .value_kind:     by_value
      - .offset:         108
        .size:           4
        .value_kind:     by_value
      - .offset:         112
        .size:           4
        .value_kind:     by_value
      - .offset:         116
        .size:           4
        .value_kind:     by_value
      - .offset:         120
        .size:           4
        .value_kind:     by_value
      - .offset:         124
        .size:           4
        .value_kind:     by_value
      - .offset:         128
        .size:           4
        .value_kind:     by_value
      - .offset:         132
        .size:           4
        .value_kind:     by_value
      - .offset:         136
        .size:           4
        .value_kind:     by_value
      - .offset:         140
        .size:           4
        .value_kind:     by_value
      - .offset:         144
        .size:           4
        .value_kind:     by_value
      - .offset:         152
        .size:           8
        .value_kind:     by_value
      - .offset:         160
        .size:           4
        .value_kind:     by_value
      - .offset:         164
        .size:           4
        .value_kind:     by_value
      - .offset:         168
        .size:           8
        .value_kind:     by_value
      - .offset:         176
        .size:           4
        .value_kind:     by_value
      - .offset:         180
        .size:           4
        .value_kind:     by_value
      - .offset:         184
        .size:           4
        .value_kind:     by_value
      - .offset:         188
        .size:           4
        .value_kind:     by_value
      - .offset:         192
        .size:           4
        .value_kind:     by_value
      - .offset:         200
        .size:           8
        .value_kind:     by_value
      - .offset:         208
        .size:           4
        .value_kind:     hidden_block_count_x
      - .offset:         212
        .size:           4
        .value_kind:     hidden_block_count_y
      - .offset:         216
        .size:           4
        .value_kind:     hidden_block_count_z
      - .offset:         220
        .size:           2
        .value_kind:     hidden_group_size_x
      - .offset:         222
        .size:           2
        .value_kind:     hidden_group_size_y
      - .offset:         224
        .size:           2
        .value_kind:     hidden_group_size_z
      - .offset:         226
        .size:           2
        .value_kind:     hidden_remainder_x
      - .offset:         228
        .size:           2
        .value_kind:     hidden_remainder_y
      - .offset:         230
        .size:           2
        .value_kind:     hidden_remainder_z
      - .offset:         248
        .size:           8
        .value_kind:     hidden_global_offset_x
      - .offset:         256
        .size:           8
        .value_kind:     hidden_global_offset_y
      - .offset:         264
        .size:           8
        .value_kind:     hidden_global_offset_z
      - .offset:         272
        .size:           2
        .value_kind:     hidden_grid_dims
      - .offset:         288
        .size:           8
        .value_kind:     hidden_hostcall_buffer
    .group_segment_fixed_size: 0
    .kernarg_segment_align: 8
    .kernarg_segment_size: 464
    .language:       OpenCL C
    .language_version:
      - 2
      - 0
    .max_flat_workgroup_size: 128
    .name:           _ZL18flash_attn_ext_f16ILi128ELi128ELi64ELi1ELb0ELb0EEvPKcS1_S1_S1_S1_PKiPfP15HIP_vector_typeIfLj2EEffffjfiS5_IjLj3EEiiiiiiiiiiiliiliiiiil
    .private_segment_fixed_size: 16
    .sgpr_count:     36
    .sgpr_spill_count: 0
    .symbol:         _ZL18flash_attn_ext_f16ILi128ELi128ELi64ELi1ELb0ELb0EEvPKcS1_S1_S1_S1_PKiPfP15HIP_vector_typeIfLj2EEffffjfiS5_IjLj3EEiiiiiiiiiiiliiliiiiil.kd
    .uniform_work_group_size: 1
    .uses_dynamic_stack: false
    .vgpr_count:     37
    .vgpr_spill_count: 0
    .wavefront_size: 32
    .workgroup_processor_mode: 1
  - .args:
      - .address_space:  global
        .offset:         0
        .size:           8
        .value_kind:     global_buffer
      - .address_space:  global
        .offset:         8
        .size:           8
        .value_kind:     global_buffer
      - .address_space:  global
        .offset:         16
        .size:           8
        .value_kind:     global_buffer
      - .address_space:  global
        .offset:         24
        .size:           8
        .value_kind:     global_buffer
      - .address_space:  global
        .offset:         32
        .size:           8
        .value_kind:     global_buffer
      - .address_space:  global
        .offset:         40
        .size:           8
        .value_kind:     global_buffer
      - .address_space:  global
        .offset:         48
        .size:           8
        .value_kind:     global_buffer
      - .address_space:  global
        .offset:         56
        .size:           8
        .value_kind:     global_buffer
      - .offset:         64
        .size:           4
        .value_kind:     by_value
      - .offset:         68
        .size:           4
        .value_kind:     by_value
      - .offset:         72
        .size:           4
        .value_kind:     by_value
      - .offset:         76
        .size:           4
        .value_kind:     by_value
      - .offset:         80
        .size:           4
        .value_kind:     by_value
      - .offset:         84
        .size:           4
        .value_kind:     by_value
      - .offset:         88
        .size:           4
        .value_kind:     by_value
      - .offset:         92
        .size:           12
        .value_kind:     by_value
      - .offset:         104
        .size:           4
        .value_kind:     by_value
      - .offset:         108
        .size:           4
        .value_kind:     by_value
      - .offset:         112
        .size:           4
        .value_kind:     by_value
      - .offset:         116
        .size:           4
        .value_kind:     by_value
      - .offset:         120
        .size:           4
        .value_kind:     by_value
      - .offset:         124
        .size:           4
        .value_kind:     by_value
      - .offset:         128
        .size:           4
        .value_kind:     by_value
      - .offset:         132
        .size:           4
        .value_kind:     by_value
      - .offset:         136
        .size:           4
        .value_kind:     by_value
      - .offset:         140
        .size:           4
        .value_kind:     by_value
      - .offset:         144
        .size:           4
        .value_kind:     by_value
      - .offset:         152
        .size:           8
        .value_kind:     by_value
      - .offset:         160
        .size:           4
        .value_kind:     by_value
      - .offset:         164
        .size:           4
        .value_kind:     by_value
      - .offset:         168
        .size:           8
        .value_kind:     by_value
      - .offset:         176
        .size:           4
        .value_kind:     by_value
      - .offset:         180
        .size:           4
        .value_kind:     by_value
      - .offset:         184
        .size:           4
        .value_kind:     by_value
      - .offset:         188
        .size:           4
        .value_kind:     by_value
      - .offset:         192
        .size:           4
        .value_kind:     by_value
      - .offset:         200
        .size:           8
        .value_kind:     by_value
      - .offset:         208
        .size:           4
        .value_kind:     hidden_block_count_x
      - .offset:         212
        .size:           4
        .value_kind:     hidden_block_count_y
      - .offset:         216
        .size:           4
        .value_kind:     hidden_block_count_z
      - .offset:         220
        .size:           2
        .value_kind:     hidden_group_size_x
      - .offset:         222
        .size:           2
        .value_kind:     hidden_group_size_y
      - .offset:         224
        .size:           2
        .value_kind:     hidden_group_size_z
      - .offset:         226
        .size:           2
        .value_kind:     hidden_remainder_x
      - .offset:         228
        .size:           2
        .value_kind:     hidden_remainder_y
      - .offset:         230
        .size:           2
        .value_kind:     hidden_remainder_z
      - .offset:         248
        .size:           8
        .value_kind:     hidden_global_offset_x
      - .offset:         256
        .size:           8
        .value_kind:     hidden_global_offset_y
      - .offset:         264
        .size:           8
        .value_kind:     hidden_global_offset_z
      - .offset:         272
        .size:           2
        .value_kind:     hidden_grid_dims
      - .offset:         288
        .size:           8
        .value_kind:     hidden_hostcall_buffer
    .group_segment_fixed_size: 0
    .kernarg_segment_align: 8
    .kernarg_segment_size: 464
    .language:       OpenCL C
    .language_version:
      - 2
      - 0
    .max_flat_workgroup_size: 128
    .name:           _ZL18flash_attn_ext_f16ILi128ELi128ELi64ELi1ELb1ELb0EEvPKcS1_S1_S1_S1_PKiPfP15HIP_vector_typeIfLj2EEffffjfiS5_IjLj3EEiiiiiiiiiiiliiliiiiil
    .private_segment_fixed_size: 16
    .sgpr_count:     36
    .sgpr_spill_count: 0
    .symbol:         _ZL18flash_attn_ext_f16ILi128ELi128ELi64ELi1ELb1ELb0EEvPKcS1_S1_S1_S1_PKiPfP15HIP_vector_typeIfLj2EEffffjfiS5_IjLj3EEiiiiiiiiiiiliiliiiiil.kd
    .uniform_work_group_size: 1
    .uses_dynamic_stack: false
    .vgpr_count:     37
    .vgpr_spill_count: 0
    .wavefront_size: 32
    .workgroup_processor_mode: 1
  - .args:
      - .address_space:  global
        .offset:         0
        .size:           8
        .value_kind:     global_buffer
      - .address_space:  global
        .offset:         8
        .size:           8
        .value_kind:     global_buffer
      - .offset:         16
        .size:           4
        .value_kind:     by_value
      - .offset:         20
        .size:           4
        .value_kind:     by_value
      - .offset:         24
        .size:           4
        .value_kind:     by_value
      - .offset:         28
        .size:           4
        .value_kind:     by_value
      - .offset:         32
        .size:           4
        .value_kind:     by_value
      - .offset:         36
        .size:           4
        .value_kind:     by_value
      - .offset:         40
        .size:           12
        .value_kind:     by_value
      - .offset:         52
        .size:           12
        .value_kind:     by_value
      - .offset:         64
        .size:           12
        .value_kind:     by_value
    .group_segment_fixed_size: 0
    .kernarg_segment_align: 8
    .kernarg_segment_size: 76
    .language:       OpenCL C
    .language_version:
      - 2
      - 0
    .max_flat_workgroup_size: 128
    .name:           _ZL33flash_attn_stream_k_fixup_uniformILi128ELi64ELi1EEvPfPK15HIP_vector_typeIfLj2EEiiiiiiS1_IjLj3EES5_S5_
    .private_segment_fixed_size: 0
    .sgpr_count:     22
    .sgpr_spill_count: 0
    .symbol:         _ZL33flash_attn_stream_k_fixup_uniformILi128ELi64ELi1EEvPfPK15HIP_vector_typeIfLj2EEiiiiiiS1_IjLj3EES5_S5_.kd
    .uniform_work_group_size: 1
    .uses_dynamic_stack: false
    .vgpr_count:     15
    .vgpr_spill_count: 0
    .wavefront_size: 32
    .workgroup_processor_mode: 1
  - .args:
      - .address_space:  global
        .offset:         0
        .size:           8
        .value_kind:     global_buffer
      - .address_space:  global
        .offset:         8
        .size:           8
        .value_kind:     global_buffer
      - .offset:         16
        .size:           4
        .value_kind:     by_value
      - .offset:         20
        .size:           4
        .value_kind:     by_value
      - .offset:         24
        .size:           4
        .value_kind:     by_value
      - .offset:         28
        .size:           4
        .value_kind:     by_value
      - .offset:         32
        .size:           12
        .value_kind:     by_value
      - .offset:         44
        .size:           12
        .value_kind:     by_value
      - .offset:         56
        .size:           12
        .value_kind:     by_value
      - .offset:         68
        .size:           12
        .value_kind:     by_value
      - .offset:         80
        .size:           4
        .value_kind:     hidden_block_count_x
      - .offset:         84
        .size:           4
        .value_kind:     hidden_block_count_y
      - .offset:         88
        .size:           4
        .value_kind:     hidden_block_count_z
      - .offset:         92
        .size:           2
        .value_kind:     hidden_group_size_x
      - .offset:         94
        .size:           2
        .value_kind:     hidden_group_size_y
      - .offset:         96
        .size:           2
        .value_kind:     hidden_group_size_z
      - .offset:         98
        .size:           2
        .value_kind:     hidden_remainder_x
      - .offset:         100
        .size:           2
        .value_kind:     hidden_remainder_y
      - .offset:         102
        .size:           2
        .value_kind:     hidden_remainder_z
      - .offset:         120
        .size:           8
        .value_kind:     hidden_global_offset_x
      - .offset:         128
        .size:           8
        .value_kind:     hidden_global_offset_y
      - .offset:         136
        .size:           8
        .value_kind:     hidden_global_offset_z
      - .offset:         144
        .size:           2
        .value_kind:     hidden_grid_dims
    .group_segment_fixed_size: 0
    .kernarg_segment_align: 8
    .kernarg_segment_size: 336
    .language:       OpenCL C
    .language_version:
      - 2
      - 0
    .max_flat_workgroup_size: 128
    .name:           _ZL33flash_attn_stream_k_fixup_generalILi128ELi64ELi1EEvPfPK15HIP_vector_typeIfLj2EEiiiiS1_IjLj3EES5_S5_S5_
    .private_segment_fixed_size: 0
    .sgpr_count:     34
    .sgpr_spill_count: 0
    .symbol:         _ZL33flash_attn_stream_k_fixup_generalILi128ELi64ELi1EEvPfPK15HIP_vector_typeIfLj2EEiiiiS1_IjLj3EES5_S5_S5_.kd
    .uniform_work_group_size: 1
    .uses_dynamic_stack: false
    .vgpr_count:     19
    .vgpr_spill_count: 0
    .wavefront_size: 32
    .workgroup_processor_mode: 1
  - .args:
      - .address_space:  global
        .offset:         0
        .size:           8
        .value_kind:     global_buffer
      - .address_space:  global
        .offset:         8
        .size:           8
        .value_kind:     global_buffer
      - .address_space:  global
        .offset:         16
        .size:           8
        .value_kind:     global_buffer
      - .offset:         24
        .size:           4
        .value_kind:     by_value
      - .offset:         32
        .size:           4
        .value_kind:     hidden_block_count_x
      - .offset:         36
        .size:           4
        .value_kind:     hidden_block_count_y
      - .offset:         40
        .size:           4
        .value_kind:     hidden_block_count_z
      - .offset:         44
        .size:           2
        .value_kind:     hidden_group_size_x
      - .offset:         46
        .size:           2
        .value_kind:     hidden_group_size_y
      - .offset:         48
        .size:           2
        .value_kind:     hidden_group_size_z
      - .offset:         50
        .size:           2
        .value_kind:     hidden_remainder_x
      - .offset:         52
        .size:           2
        .value_kind:     hidden_remainder_y
      - .offset:         54
        .size:           2
        .value_kind:     hidden_remainder_z
      - .offset:         72
        .size:           8
        .value_kind:     hidden_global_offset_x
      - .offset:         80
        .size:           8
        .value_kind:     hidden_global_offset_y
      - .offset:         88
        .size:           8
        .value_kind:     hidden_global_offset_z
      - .offset:         96
        .size:           2
        .value_kind:     hidden_grid_dims
      - .offset:         152
        .size:           4
        .value_kind:     hidden_dynamic_lds_size
    .group_segment_fixed_size: 0
    .kernarg_segment_align: 8
    .kernarg_segment_size: 288
    .language:       OpenCL C
    .language_version:
      - 2
      - 0
    .max_flat_workgroup_size: 128
    .name:           _ZL26flash_attn_combine_resultsILi128EEvPKfPK15HIP_vector_typeIfLj2EEPfi
    .private_segment_fixed_size: 0
    .sgpr_count:     18
    .sgpr_spill_count: 0
    .symbol:         _ZL26flash_attn_combine_resultsILi128EEvPKfPK15HIP_vector_typeIfLj2EEPfi.kd
    .uniform_work_group_size: 1
    .uses_dynamic_stack: false
    .vgpr_count:     55
    .vgpr_spill_count: 0
    .wavefront_size: 32
    .workgroup_processor_mode: 1
  - .args:
      - .address_space:  global
        .offset:         0
        .size:           8
        .value_kind:     global_buffer
      - .address_space:  global
        .offset:         8
        .size:           8
        .value_kind:     global_buffer
      - .address_space:  global
        .offset:         16
        .size:           8
        .value_kind:     global_buffer
      - .address_space:  global
        .offset:         24
        .size:           8
        .value_kind:     global_buffer
      - .address_space:  global
        .offset:         32
        .size:           8
        .value_kind:     global_buffer
      - .address_space:  global
        .offset:         40
        .size:           8
        .value_kind:     global_buffer
      - .address_space:  global
        .offset:         48
        .size:           8
        .value_kind:     global_buffer
      - .address_space:  global
        .offset:         56
        .size:           8
        .value_kind:     global_buffer
      - .offset:         64
        .size:           4
        .value_kind:     by_value
      - .offset:         68
        .size:           4
        .value_kind:     by_value
      - .offset:         72
        .size:           4
        .value_kind:     by_value
      - .offset:         76
        .size:           4
        .value_kind:     by_value
      - .offset:         80
        .size:           4
        .value_kind:     by_value
      - .offset:         84
        .size:           4
        .value_kind:     by_value
      - .offset:         88
        .size:           4
        .value_kind:     by_value
      - .offset:         92
        .size:           12
        .value_kind:     by_value
      - .offset:         104
        .size:           4
        .value_kind:     by_value
      - .offset:         108
        .size:           4
        .value_kind:     by_value
      - .offset:         112
        .size:           4
        .value_kind:     by_value
      - .offset:         116
        .size:           4
        .value_kind:     by_value
      - .offset:         120
        .size:           4
        .value_kind:     by_value
      - .offset:         124
        .size:           4
        .value_kind:     by_value
      - .offset:         128
        .size:           4
        .value_kind:     by_value
      - .offset:         132
        .size:           4
        .value_kind:     by_value
      - .offset:         136
        .size:           4
        .value_kind:     by_value
      - .offset:         140
        .size:           4
        .value_kind:     by_value
      - .offset:         144
        .size:           4
        .value_kind:     by_value
      - .offset:         152
        .size:           8
        .value_kind:     by_value
      - .offset:         160
        .size:           4
        .value_kind:     by_value
      - .offset:         164
        .size:           4
        .value_kind:     by_value
      - .offset:         168
        .size:           8
        .value_kind:     by_value
      - .offset:         176
        .size:           4
        .value_kind:     by_value
      - .offset:         180
        .size:           4
        .value_kind:     by_value
      - .offset:         184
        .size:           4
        .value_kind:     by_value
      - .offset:         188
        .size:           4
        .value_kind:     by_value
      - .offset:         192
        .size:           4
        .value_kind:     by_value
      - .offset:         200
        .size:           8
        .value_kind:     by_value
      - .offset:         208
        .size:           4
        .value_kind:     hidden_block_count_x
      - .offset:         212
        .size:           4
        .value_kind:     hidden_block_count_y
      - .offset:         216
        .size:           4
        .value_kind:     hidden_block_count_z
      - .offset:         220
        .size:           2
        .value_kind:     hidden_group_size_x
      - .offset:         222
        .size:           2
        .value_kind:     hidden_group_size_y
      - .offset:         224
        .size:           2
        .value_kind:     hidden_group_size_z
      - .offset:         226
        .size:           2
        .value_kind:     hidden_remainder_x
      - .offset:         228
        .size:           2
        .value_kind:     hidden_remainder_y
      - .offset:         230
        .size:           2
        .value_kind:     hidden_remainder_z
      - .offset:         248
        .size:           8
        .value_kind:     hidden_global_offset_x
      - .offset:         256
        .size:           8
        .value_kind:     hidden_global_offset_y
      - .offset:         264
        .size:           8
        .value_kind:     hidden_global_offset_z
      - .offset:         272
        .size:           2
        .value_kind:     hidden_grid_dims
      - .offset:         288
        .size:           8
        .value_kind:     hidden_hostcall_buffer
    .group_segment_fixed_size: 0
    .kernarg_segment_align: 8
    .kernarg_segment_size: 464
    .language:       OpenCL C
    .language_version:
      - 2
      - 0
    .max_flat_workgroup_size: 128
    .name:           _ZL18flash_attn_ext_f16ILi256ELi256ELi64ELi1ELb0ELb0EEvPKcS1_S1_S1_S1_PKiPfP15HIP_vector_typeIfLj2EEffffjfiS5_IjLj3EEiiiiiiiiiiiliiliiiiil
    .private_segment_fixed_size: 16
    .sgpr_count:     36
    .sgpr_spill_count: 0
    .symbol:         _ZL18flash_attn_ext_f16ILi256ELi256ELi64ELi1ELb0ELb0EEvPKcS1_S1_S1_S1_PKiPfP15HIP_vector_typeIfLj2EEffffjfiS5_IjLj3EEiiiiiiiiiiiliiliiiiil.kd
    .uniform_work_group_size: 1
    .uses_dynamic_stack: false
    .vgpr_count:     37
    .vgpr_spill_count: 0
    .wavefront_size: 32
    .workgroup_processor_mode: 1
  - .args:
      - .address_space:  global
        .offset:         0
        .size:           8
        .value_kind:     global_buffer
      - .address_space:  global
        .offset:         8
        .size:           8
        .value_kind:     global_buffer
      - .address_space:  global
        .offset:         16
        .size:           8
        .value_kind:     global_buffer
      - .address_space:  global
        .offset:         24
        .size:           8
        .value_kind:     global_buffer
      - .address_space:  global
        .offset:         32
        .size:           8
        .value_kind:     global_buffer
      - .address_space:  global
        .offset:         40
        .size:           8
        .value_kind:     global_buffer
      - .address_space:  global
        .offset:         48
        .size:           8
        .value_kind:     global_buffer
      - .address_space:  global
        .offset:         56
        .size:           8
        .value_kind:     global_buffer
      - .offset:         64
        .size:           4
        .value_kind:     by_value
      - .offset:         68
        .size:           4
        .value_kind:     by_value
      - .offset:         72
        .size:           4
        .value_kind:     by_value
      - .offset:         76
        .size:           4
        .value_kind:     by_value
      - .offset:         80
        .size:           4
        .value_kind:     by_value
      - .offset:         84
        .size:           4
        .value_kind:     by_value
      - .offset:         88
        .size:           4
        .value_kind:     by_value
      - .offset:         92
        .size:           12
        .value_kind:     by_value
      - .offset:         104
        .size:           4
        .value_kind:     by_value
      - .offset:         108
        .size:           4
        .value_kind:     by_value
      - .offset:         112
        .size:           4
        .value_kind:     by_value
      - .offset:         116
        .size:           4
        .value_kind:     by_value
      - .offset:         120
        .size:           4
        .value_kind:     by_value
      - .offset:         124
        .size:           4
        .value_kind:     by_value
      - .offset:         128
        .size:           4
        .value_kind:     by_value
      - .offset:         132
        .size:           4
        .value_kind:     by_value
      - .offset:         136
        .size:           4
        .value_kind:     by_value
      - .offset:         140
        .size:           4
        .value_kind:     by_value
      - .offset:         144
        .size:           4
        .value_kind:     by_value
      - .offset:         152
        .size:           8
        .value_kind:     by_value
      - .offset:         160
        .size:           4
        .value_kind:     by_value
      - .offset:         164
        .size:           4
        .value_kind:     by_value
      - .offset:         168
        .size:           8
        .value_kind:     by_value
      - .offset:         176
        .size:           4
        .value_kind:     by_value
      - .offset:         180
        .size:           4
        .value_kind:     by_value
      - .offset:         184
        .size:           4
        .value_kind:     by_value
      - .offset:         188
        .size:           4
        .value_kind:     by_value
      - .offset:         192
        .size:           4
        .value_kind:     by_value
      - .offset:         200
        .size:           8
        .value_kind:     by_value
      - .offset:         208
        .size:           4
        .value_kind:     hidden_block_count_x
      - .offset:         212
        .size:           4
        .value_kind:     hidden_block_count_y
      - .offset:         216
        .size:           4
        .value_kind:     hidden_block_count_z
      - .offset:         220
        .size:           2
        .value_kind:     hidden_group_size_x
      - .offset:         222
        .size:           2
        .value_kind:     hidden_group_size_y
      - .offset:         224
        .size:           2
        .value_kind:     hidden_group_size_z
      - .offset:         226
        .size:           2
        .value_kind:     hidden_remainder_x
      - .offset:         228
        .size:           2
        .value_kind:     hidden_remainder_y
      - .offset:         230
        .size:           2
        .value_kind:     hidden_remainder_z
      - .offset:         248
        .size:           8
        .value_kind:     hidden_global_offset_x
      - .offset:         256
        .size:           8
        .value_kind:     hidden_global_offset_y
      - .offset:         264
        .size:           8
        .value_kind:     hidden_global_offset_z
      - .offset:         272
        .size:           2
        .value_kind:     hidden_grid_dims
      - .offset:         288
        .size:           8
        .value_kind:     hidden_hostcall_buffer
    .group_segment_fixed_size: 0
    .kernarg_segment_align: 8
    .kernarg_segment_size: 464
    .language:       OpenCL C
    .language_version:
      - 2
      - 0
    .max_flat_workgroup_size: 128
    .name:           _ZL18flash_attn_ext_f16ILi256ELi256ELi64ELi1ELb1ELb0EEvPKcS1_S1_S1_S1_PKiPfP15HIP_vector_typeIfLj2EEffffjfiS5_IjLj3EEiiiiiiiiiiiliiliiiiil
    .private_segment_fixed_size: 16
    .sgpr_count:     36
    .sgpr_spill_count: 0
    .symbol:         _ZL18flash_attn_ext_f16ILi256ELi256ELi64ELi1ELb1ELb0EEvPKcS1_S1_S1_S1_PKiPfP15HIP_vector_typeIfLj2EEffffjfiS5_IjLj3EEiiiiiiiiiiiliiliiiiil.kd
    .uniform_work_group_size: 1
    .uses_dynamic_stack: false
    .vgpr_count:     37
    .vgpr_spill_count: 0
    .wavefront_size: 32
    .workgroup_processor_mode: 1
  - .args:
      - .address_space:  global
        .offset:         0
        .size:           8
        .value_kind:     global_buffer
      - .address_space:  global
        .offset:         8
        .size:           8
        .value_kind:     global_buffer
      - .offset:         16
        .size:           4
        .value_kind:     by_value
      - .offset:         20
        .size:           4
        .value_kind:     by_value
      - .offset:         24
        .size:           4
        .value_kind:     by_value
      - .offset:         28
        .size:           4
        .value_kind:     by_value
      - .offset:         32
        .size:           4
        .value_kind:     by_value
      - .offset:         36
        .size:           4
        .value_kind:     by_value
      - .offset:         40
        .size:           12
        .value_kind:     by_value
      - .offset:         52
        .size:           12
        .value_kind:     by_value
      - .offset:         64
        .size:           12
        .value_kind:     by_value
    .group_segment_fixed_size: 0
    .kernarg_segment_align: 8
    .kernarg_segment_size: 76
    .language:       OpenCL C
    .language_version:
      - 2
      - 0
    .max_flat_workgroup_size: 256
    .name:           _ZL33flash_attn_stream_k_fixup_uniformILi256ELi64ELi1EEvPfPK15HIP_vector_typeIfLj2EEiiiiiiS1_IjLj3EES5_S5_
    .private_segment_fixed_size: 0
    .sgpr_count:     22
    .sgpr_spill_count: 0
    .symbol:         _ZL33flash_attn_stream_k_fixup_uniformILi256ELi64ELi1EEvPfPK15HIP_vector_typeIfLj2EEiiiiiiS1_IjLj3EES5_S5_.kd
    .uniform_work_group_size: 1
    .uses_dynamic_stack: false
    .vgpr_count:     15
    .vgpr_spill_count: 0
    .wavefront_size: 32
    .workgroup_processor_mode: 1
  - .args:
      - .address_space:  global
        .offset:         0
        .size:           8
        .value_kind:     global_buffer
      - .address_space:  global
        .offset:         8
        .size:           8
        .value_kind:     global_buffer
      - .offset:         16
        .size:           4
        .value_kind:     by_value
      - .offset:         20
        .size:           4
        .value_kind:     by_value
      - .offset:         24
        .size:           4
        .value_kind:     by_value
      - .offset:         28
        .size:           4
        .value_kind:     by_value
      - .offset:         32
        .size:           12
        .value_kind:     by_value
      - .offset:         44
        .size:           12
        .value_kind:     by_value
      - .offset:         56
        .size:           12
        .value_kind:     by_value
      - .offset:         68
        .size:           12
        .value_kind:     by_value
      - .offset:         80
        .size:           4
        .value_kind:     hidden_block_count_x
      - .offset:         84
        .size:           4
        .value_kind:     hidden_block_count_y
      - .offset:         88
        .size:           4
        .value_kind:     hidden_block_count_z
      - .offset:         92
        .size:           2
        .value_kind:     hidden_group_size_x
      - .offset:         94
        .size:           2
        .value_kind:     hidden_group_size_y
      - .offset:         96
        .size:           2
        .value_kind:     hidden_group_size_z
      - .offset:         98
        .size:           2
        .value_kind:     hidden_remainder_x
      - .offset:         100
        .size:           2
        .value_kind:     hidden_remainder_y
      - .offset:         102
        .size:           2
        .value_kind:     hidden_remainder_z
      - .offset:         120
        .size:           8
        .value_kind:     hidden_global_offset_x
      - .offset:         128
        .size:           8
        .value_kind:     hidden_global_offset_y
      - .offset:         136
        .size:           8
        .value_kind:     hidden_global_offset_z
      - .offset:         144
        .size:           2
        .value_kind:     hidden_grid_dims
    .group_segment_fixed_size: 0
    .kernarg_segment_align: 8
    .kernarg_segment_size: 336
    .language:       OpenCL C
    .language_version:
      - 2
      - 0
    .max_flat_workgroup_size: 256
    .name:           _ZL33flash_attn_stream_k_fixup_generalILi256ELi64ELi1EEvPfPK15HIP_vector_typeIfLj2EEiiiiS1_IjLj3EES5_S5_S5_
    .private_segment_fixed_size: 0
    .sgpr_count:     34
    .sgpr_spill_count: 0
    .symbol:         _ZL33flash_attn_stream_k_fixup_generalILi256ELi64ELi1EEvPfPK15HIP_vector_typeIfLj2EEiiiiS1_IjLj3EES5_S5_S5_.kd
    .uniform_work_group_size: 1
    .uses_dynamic_stack: false
    .vgpr_count:     19
    .vgpr_spill_count: 0
    .wavefront_size: 32
    .workgroup_processor_mode: 1
  - .args:
      - .address_space:  global
        .offset:         0
        .size:           8
        .value_kind:     global_buffer
      - .address_space:  global
        .offset:         8
        .size:           8
        .value_kind:     global_buffer
      - .address_space:  global
        .offset:         16
        .size:           8
        .value_kind:     global_buffer
      - .offset:         24
        .size:           4
        .value_kind:     by_value
      - .offset:         32
        .size:           4
        .value_kind:     hidden_block_count_x
      - .offset:         36
        .size:           4
        .value_kind:     hidden_block_count_y
      - .offset:         40
        .size:           4
        .value_kind:     hidden_block_count_z
      - .offset:         44
        .size:           2
        .value_kind:     hidden_group_size_x
      - .offset:         46
        .size:           2
        .value_kind:     hidden_group_size_y
      - .offset:         48
        .size:           2
        .value_kind:     hidden_group_size_z
      - .offset:         50
        .size:           2
        .value_kind:     hidden_remainder_x
      - .offset:         52
        .size:           2
        .value_kind:     hidden_remainder_y
      - .offset:         54
        .size:           2
        .value_kind:     hidden_remainder_z
      - .offset:         72
        .size:           8
        .value_kind:     hidden_global_offset_x
      - .offset:         80
        .size:           8
        .value_kind:     hidden_global_offset_y
      - .offset:         88
        .size:           8
        .value_kind:     hidden_global_offset_z
      - .offset:         96
        .size:           2
        .value_kind:     hidden_grid_dims
      - .offset:         152
        .size:           4
        .value_kind:     hidden_dynamic_lds_size
    .group_segment_fixed_size: 0
    .kernarg_segment_align: 8
    .kernarg_segment_size: 288
    .language:       OpenCL C
    .language_version:
      - 2
      - 0
    .max_flat_workgroup_size: 256
    .name:           _ZL26flash_attn_combine_resultsILi256EEvPKfPK15HIP_vector_typeIfLj2EEPfi
    .private_segment_fixed_size: 0
    .sgpr_count:     18
    .sgpr_spill_count: 0
    .symbol:         _ZL26flash_attn_combine_resultsILi256EEvPKfPK15HIP_vector_typeIfLj2EEPfi.kd
    .uniform_work_group_size: 1
    .uses_dynamic_stack: false
    .vgpr_count:     55
    .vgpr_spill_count: 0
    .wavefront_size: 32
    .workgroup_processor_mode: 1
amdhsa.target:   amdgcn-amd-amdhsa--gfx1100
amdhsa.version:
  - 1
  - 2
...

	.end_amdgpu_metadata
